;; amdgpu-corpus repo=ROCm/rocFFT kind=compiled arch=gfx906 opt=O3
	.text
	.amdgcn_target "amdgcn-amd-amdhsa--gfx906"
	.amdhsa_code_object_version 6
	.protected	bluestein_single_fwd_len845_dim1_sp_op_CI_CI ; -- Begin function bluestein_single_fwd_len845_dim1_sp_op_CI_CI
	.globl	bluestein_single_fwd_len845_dim1_sp_op_CI_CI
	.p2align	8
	.type	bluestein_single_fwd_len845_dim1_sp_op_CI_CI,@function
bluestein_single_fwd_len845_dim1_sp_op_CI_CI: ; @bluestein_single_fwd_len845_dim1_sp_op_CI_CI
; %bb.0:
	v_mul_u32_u24_e32 v1, 0x3f1, v0
	s_load_dwordx4 s[8:11], s[4:5], 0x28
	v_lshrrev_b32_e32 v1, 16, v1
	v_mad_u64_u32 v[76:77], s[0:1], s6, 3, v[1:2]
	v_mov_b32_e32 v77, 0
	s_waitcnt lgkmcnt(0)
	v_cmp_gt_u64_e32 vcc, s[8:9], v[76:77]
	s_and_saveexec_b64 s[0:1], vcc
	s_cbranch_execz .LBB0_10
; %bb.1:
	s_load_dwordx4 s[0:3], s[4:5], 0x18
	s_load_dwordx4 s[12:15], s[4:5], 0x0
	v_mul_lo_u16_e32 v1, 0x41, v1
	v_sub_u16_e32 v105, v0, v1
	v_lshlrev_b32_e32 v30, 3, v105
	s_waitcnt lgkmcnt(0)
	s_load_dwordx4 s[16:19], s[0:1], 0x0
	s_movk_i32 s8, 0x1000
	s_waitcnt lgkmcnt(0)
	v_mad_u64_u32 v[0:1], s[0:1], s18, v76, 0
	v_mad_u64_u32 v[2:3], s[0:1], s16, v105, 0
	s_mul_i32 s6, s17, 0x208
	s_mul_hi_u32 s7, s16, 0x208
	v_mad_u64_u32 v[4:5], s[0:1], s19, v76, v[1:2]
	s_add_i32 s6, s7, s6
	s_mul_i32 s7, s16, 0x208
	v_mad_u64_u32 v[5:6], s[0:1], s17, v105, v[3:4]
	v_mov_b32_e32 v1, v4
	v_lshlrev_b64 v[0:1], 3, v[0:1]
	v_mov_b32_e32 v6, s11
	v_mov_b32_e32 v3, v5
	v_add_co_u32_e32 v4, vcc, s10, v0
	v_addc_co_u32_e32 v5, vcc, v6, v1, vcc
	v_lshlrev_b64 v[0:1], 3, v[2:3]
	v_add_co_u32_e64 v54, s[0:1], s12, v30
	v_add_co_u32_e32 v0, vcc, v4, v0
	v_mov_b32_e32 v4, s13
	v_addc_co_u32_e32 v1, vcc, v5, v1, vcc
	v_addc_co_u32_e64 v21, vcc, 0, v4, s[0:1]
	global_load_dwordx2 v[2:3], v[0:1], off
	v_mov_b32_e32 v4, s6
	v_add_co_u32_e32 v0, vcc, s7, v0
	v_addc_co_u32_e32 v1, vcc, v1, v4, vcc
	v_mov_b32_e32 v5, s6
	v_add_co_u32_e32 v4, vcc, s7, v0
	v_addc_co_u32_e32 v5, vcc, v1, v5, vcc
	;; [unrolled: 3-line block ×4, first 2 shown]
	global_load_dwordx2 v[101:102], v30, s[12:13]
	global_load_dwordx2 v[97:98], v30, s[12:13] offset:520
	global_load_dwordx2 v[89:90], v30, s[12:13] offset:1040
	;; [unrolled: 1-line block ×3, first 2 shown]
	global_load_dwordx2 v[10:11], v[0:1], off
	global_load_dwordx2 v[12:13], v[4:5], off
	;; [unrolled: 1-line block ×4, first 2 shown]
	v_mov_b32_e32 v1, s6
	v_add_co_u32_e32 v0, vcc, s7, v8
	v_addc_co_u32_e32 v1, vcc, v9, v1, vcc
	global_load_dwordx2 v[4:5], v[0:1], off
	v_mov_b32_e32 v6, s6
	v_add_co_u32_e32 v0, vcc, s7, v0
	v_addc_co_u32_e32 v1, vcc, v1, v6, vcc
	global_load_dwordx2 v[6:7], v[0:1], off
	;; [unrolled: 4-line block ×3, first 2 shown]
	global_load_dwordx2 v[99:100], v30, s[12:13] offset:2080
	global_load_dwordx2 v[95:96], v30, s[12:13] offset:2600
	;; [unrolled: 1-line block ×4, first 2 shown]
	v_mov_b32_e32 v18, s6
	v_add_co_u32_e32 v0, vcc, s7, v0
	v_addc_co_u32_e32 v1, vcc, v1, v18, vcc
	v_add_co_u32_e32 v20, vcc, s8, v54
	v_addc_co_u32_e32 v21, vcc, 0, v21, vcc
	global_load_dwordx2 v[18:19], v[0:1], off
	v_mov_b32_e32 v22, s6
	v_add_co_u32_e32 v0, vcc, s7, v0
	v_addc_co_u32_e32 v1, vcc, v1, v22, vcc
	global_load_dwordx2 v[22:23], v[0:1], off
	global_load_dwordx2 v[93:94], v[20:21], off offset:64
	global_load_dwordx2 v[81:82], v[20:21], off offset:584
	v_mov_b32_e32 v24, s6
	v_add_co_u32_e32 v0, vcc, s7, v0
	v_addc_co_u32_e32 v1, vcc, v1, v24, vcc
	global_load_dwordx2 v[24:25], v[0:1], off
	v_mov_b32_e32 v26, s6
	v_add_co_u32_e32 v0, vcc, s7, v0
	v_addc_co_u32_e32 v1, vcc, v1, v26, vcc
	global_load_dwordx2 v[87:88], v[20:21], off offset:1104
	global_load_dwordx2 v[26:27], v[0:1], off
	global_load_dwordx2 v[79:80], v[20:21], off offset:1624
	v_mov_b32_e32 v28, s6
	v_add_co_u32_e32 v0, vcc, s7, v0
	v_addc_co_u32_e32 v1, vcc, v1, v28, vcc
	global_load_dwordx2 v[28:29], v[0:1], off
	global_load_dwordx2 v[77:78], v[20:21], off offset:2144
	s_mov_b32 s6, 0xaaaaaaab
	v_mul_hi_u32 v0, v76, s6
	s_load_dwordx2 s[6:7], s[4:5], 0x38
	s_load_dwordx4 s[8:11], s[2:3], 0x0
	s_mov_b32 s4, 0x3f62ad3f
	s_mov_b32 s3, 0x3f116cb1
	v_lshrrev_b32_e32 v0, 1, v0
	v_lshl_add_u32 v0, v0, 1, v0
	v_sub_u32_e32 v0, v76, v0
	v_mul_u32_u24_e32 v1, 0x34d, v0
	v_lshlrev_b32_e32 v107, 3, v1
	v_add_u32_e32 v106, v30, v107
	s_mov_b32 s2, 0x3df6dbef
	s_mov_b32 s5, 0xbeb58ec6
	s_mov_b32 s12, 0xbf3f9e67
	s_mov_b32 s16, 0xbf788fa5
	v_cmp_gt_u16_e32 vcc, 39, v105
	s_waitcnt vmcnt(24)
	v_mul_f32_e32 v0, v3, v102
	v_mul_f32_e32 v1, v2, v102
	v_fmac_f32_e32 v0, v2, v101
	v_fma_f32 v1, v3, v101, -v1
	s_waitcnt vmcnt(20)
	v_mul_f32_e32 v2, v11, v98
	v_mul_f32_e32 v3, v10, v98
	v_fmac_f32_e32 v2, v10, v97
	v_fma_f32 v3, v11, v97, -v3
	ds_write2_b64 v106, v[0:1], v[2:3] offset1:65
	s_waitcnt vmcnt(19)
	v_mul_f32_e32 v0, v13, v90
	v_mul_f32_e32 v1, v12, v90
	s_waitcnt vmcnt(18)
	v_mul_f32_e32 v2, v15, v84
	v_mul_f32_e32 v3, v14, v84
	v_fmac_f32_e32 v0, v12, v89
	v_fma_f32 v1, v13, v89, -v1
	v_fmac_f32_e32 v2, v14, v83
	v_fma_f32 v3, v15, v83, -v3
	ds_write2_b64 v106, v[0:1], v[2:3] offset0:130 offset1:195
	v_add_u32_e32 v14, 0x800, v106
	s_waitcnt vmcnt(13)
	v_mul_f32_e32 v0, v17, v100
	v_mul_f32_e32 v1, v16, v100
	s_waitcnt vmcnt(12)
	v_mul_f32_e32 v2, v5, v96
	v_mul_f32_e32 v3, v4, v96
	v_fmac_f32_e32 v0, v16, v99
	v_fma_f32 v1, v17, v99, -v1
	v_fmac_f32_e32 v2, v4, v95
	v_fma_f32 v3, v5, v95, -v3
	ds_write2_b64 v14, v[0:1], v[2:3] offset0:4 offset1:69
	s_waitcnt vmcnt(11)
	v_mul_f32_e32 v0, v7, v92
	v_mul_f32_e32 v1, v6, v92
	s_waitcnt vmcnt(10)
	v_mul_f32_e32 v2, v9, v86
	v_mul_f32_e32 v3, v8, v86
	v_fmac_f32_e32 v0, v6, v91
	v_fma_f32 v1, v7, v91, -v1
	v_fmac_f32_e32 v2, v8, v85
	v_fma_f32 v3, v9, v85, -v3
	ds_write2_b64 v14, v[0:1], v[2:3] offset0:134 offset1:199
	s_waitcnt vmcnt(7)
	v_mul_f32_e32 v0, v19, v94
	v_mul_f32_e32 v1, v18, v94
	s_waitcnt vmcnt(6)
	v_mul_f32_e32 v2, v23, v82
	v_mul_f32_e32 v3, v22, v82
	v_fmac_f32_e32 v0, v18, v93
	v_fma_f32 v1, v19, v93, -v1
	v_fmac_f32_e32 v2, v22, v81
	v_fma_f32 v3, v23, v81, -v3
	v_add_u32_e32 v15, 0x1000, v106
	ds_write2_b64 v15, v[0:1], v[2:3] offset0:8 offset1:73
	s_waitcnt vmcnt(4)
	v_mul_f32_e32 v0, v25, v88
	v_mul_f32_e32 v1, v24, v88
	s_waitcnt vmcnt(2)
	v_mul_f32_e32 v2, v27, v80
	v_mul_f32_e32 v3, v26, v80
	v_fmac_f32_e32 v0, v24, v87
	v_fma_f32 v1, v25, v87, -v1
	v_fmac_f32_e32 v2, v26, v79
	v_fma_f32 v3, v27, v79, -v3
	ds_write2_b64 v15, v[0:1], v[2:3] offset0:138 offset1:203
	s_waitcnt vmcnt(0)
	v_mul_f32_e32 v0, v29, v78
	v_mul_f32_e32 v1, v28, v78
	v_fmac_f32_e32 v0, v28, v77
	v_fma_f32 v1, v29, v77, -v1
	ds_write_b64 v106, v[0:1] offset:6240
	s_waitcnt lgkmcnt(0)
	s_barrier
	ds_read2_b64 v[16:19], v106 offset1:65
	ds_read2_b64 v[20:23], v106 offset0:130 offset1:195
	ds_read2_b64 v[4:7], v14 offset0:4 offset1:69
	;; [unrolled: 1-line block ×5, first 2 shown]
	ds_read_b64 v[28:29], v106 offset:6240
	s_waitcnt lgkmcnt(6)
	v_add_f32_e32 v12, v16, v18
	v_add_f32_e32 v13, v17, v19
	s_waitcnt lgkmcnt(5)
	v_add_f32_e32 v12, v12, v20
	v_add_f32_e32 v13, v13, v21
	v_add_f32_e32 v12, v12, v22
	v_add_f32_e32 v13, v13, v23
	s_waitcnt lgkmcnt(4)
	v_add_f32_e32 v12, v12, v4
	v_add_f32_e32 v13, v13, v5
	;; [unrolled: 5-line block ×5, first 2 shown]
	v_add_f32_e32 v12, v12, v26
	s_waitcnt lgkmcnt(0)
	v_add_f32_e32 v30, v28, v18
	v_add_f32_e32 v31, v29, v19
	v_sub_f32_e32 v18, v18, v28
	v_sub_f32_e32 v19, v19, v29
	v_add_f32_e32 v13, v13, v27
	v_add_f32_e32 v12, v12, v28
	v_mul_f32_e32 v28, 0xbeedf032, v19
	v_mul_f32_e32 v32, 0xbeedf032, v18
	;; [unrolled: 1-line block ×12, first 2 shown]
	v_add_f32_e32 v13, v13, v29
	v_fma_f32 v29, v30, s4, -v28
	v_mov_b32_e32 v33, v32
	v_fmac_f32_e32 v28, 0x3f62ad3f, v30
	v_fma_f32 v35, v30, s3, -v34
	v_mov_b32_e32 v37, v36
	v_fmac_f32_e32 v34, 0x3f116cb1, v30
	v_fma_f32 v39, v30, s2, -v38
	v_mov_b32_e32 v41, v40
	v_fmac_f32_e32 v38, 0x3df6dbef, v30
	v_fma_f32 v43, v30, s5, -v42
	v_mov_b32_e32 v45, v44
	v_fmac_f32_e32 v42, 0xbeb58ec6, v30
	v_fma_f32 v47, v30, s12, -v46
	v_mov_b32_e32 v49, v48
	v_fmac_f32_e32 v46, 0xbf3f9e67, v30
	v_fma_f32 v50, v30, s16, -v19
	v_mov_b32_e32 v51, v18
	v_fmac_f32_e32 v19, 0xbf788fa5, v30
	v_add_f32_e32 v29, v16, v29
	v_fmac_f32_e32 v33, 0x3f62ad3f, v31
	v_add_f32_e32 v28, v16, v28
	v_fma_f32 v32, v31, s4, -v32
	v_add_f32_e32 v35, v16, v35
	v_fmac_f32_e32 v37, 0x3f116cb1, v31
	v_add_f32_e32 v34, v16, v34
	v_fma_f32 v36, v31, s3, -v36
	;; [unrolled: 4-line block ×6, first 2 shown]
	v_add_f32_e32 v19, v27, v21
	v_sub_f32_e32 v21, v21, v27
	v_add_f32_e32 v33, v17, v33
	v_add_f32_e32 v32, v17, v32
	;; [unrolled: 1-line block ×13, first 2 shown]
	v_sub_f32_e32 v20, v20, v26
	v_mul_f32_e32 v26, 0xbf52af12, v21
	v_fma_f32 v27, v18, s3, -v26
	v_add_f32_e32 v27, v27, v29
	v_mul_f32_e32 v29, 0xbf52af12, v20
	v_fmac_f32_e32 v26, 0x3f116cb1, v18
	v_mov_b32_e32 v30, v29
	v_add_f32_e32 v26, v26, v28
	v_fma_f32 v28, v19, s3, -v29
	v_mul_f32_e32 v29, 0xbf6f5d39, v21
	v_fma_f32 v31, v18, s5, -v29
	v_fmac_f32_e32 v29, 0xbeb58ec6, v18
	v_fmac_f32_e32 v30, 0x3f116cb1, v19
	v_add_f32_e32 v28, v28, v32
	v_mul_f32_e32 v32, 0xbf6f5d39, v20
	v_add_f32_e32 v29, v29, v34
	v_mul_f32_e32 v34, 0xbe750f2a, v21
	v_add_f32_e32 v30, v30, v33
	v_add_f32_e32 v31, v31, v35
	v_mov_b32_e32 v33, v32
	v_fma_f32 v32, v19, s5, -v32
	v_fma_f32 v35, v18, s16, -v34
	v_fmac_f32_e32 v34, 0xbf788fa5, v18
	v_fmac_f32_e32 v33, 0xbeb58ec6, v19
	v_add_f32_e32 v32, v32, v36
	v_mul_f32_e32 v36, 0xbe750f2a, v20
	v_add_f32_e32 v34, v34, v38
	v_mul_f32_e32 v38, 0x3f29c268, v21
	v_add_f32_e32 v33, v33, v37
	v_add_f32_e32 v35, v35, v39
	v_mov_b32_e32 v37, v36
	v_fma_f32 v36, v19, s16, -v36
	;; [unrolled: 11-line block ×3, first 2 shown]
	v_fma_f32 v43, v18, s2, -v42
	v_fmac_f32_e32 v42, 0x3df6dbef, v18
	v_mul_f32_e32 v21, 0x3eedf032, v21
	v_add_f32_e32 v40, v40, v44
	v_mul_f32_e32 v44, 0x3f7e222b, v20
	v_add_f32_e32 v42, v42, v46
	v_fma_f32 v46, v18, s4, -v21
	v_mul_f32_e32 v20, 0x3eedf032, v20
	v_fmac_f32_e32 v21, 0x3f62ad3f, v18
	v_fmac_f32_e32 v41, 0xbf3f9e67, v19
	v_add_f32_e32 v16, v21, v16
	v_fma_f32 v18, v19, s4, -v20
	v_sub_f32_e32 v21, v23, v25
	v_add_f32_e32 v41, v41, v45
	v_add_f32_e32 v43, v43, v47
	v_mov_b32_e32 v45, v44
	v_mov_b32_e32 v47, v20
	v_add_f32_e32 v17, v18, v17
	v_add_f32_e32 v18, v24, v22
	v_sub_f32_e32 v20, v22, v24
	v_mul_f32_e32 v22, 0xbf7e222b, v21
	v_fmac_f32_e32 v45, 0x3df6dbef, v19
	v_fma_f32 v44, v19, s2, -v44
	v_fmac_f32_e32 v47, 0x3f62ad3f, v19
	v_add_f32_e32 v19, v25, v23
	v_fma_f32 v23, v18, s2, -v22
	v_mul_f32_e32 v24, 0xbf7e222b, v20
	v_fmac_f32_e32 v22, 0x3df6dbef, v18
	v_mov_b32_e32 v25, v24
	v_add_f32_e32 v22, v22, v26
	v_fma_f32 v24, v19, s2, -v24
	v_mul_f32_e32 v26, 0xbe750f2a, v21
	v_add_f32_e32 v23, v23, v27
	v_fmac_f32_e32 v25, 0x3df6dbef, v19
	v_add_f32_e32 v24, v24, v28
	v_fma_f32 v27, v18, s16, -v26
	v_mul_f32_e32 v28, 0xbe750f2a, v20
	v_fmac_f32_e32 v26, 0xbf788fa5, v18
	v_add_f32_e32 v25, v25, v30
	v_mov_b32_e32 v30, v28
	v_add_f32_e32 v26, v26, v29
	v_fma_f32 v28, v19, s16, -v28
	v_mul_f32_e32 v29, 0x3f6f5d39, v21
	v_add_f32_e32 v27, v27, v31
	v_fmac_f32_e32 v30, 0xbf788fa5, v19
	v_add_f32_e32 v28, v28, v32
	v_fma_f32 v31, v18, s5, -v29
	v_mul_f32_e32 v32, 0x3f6f5d39, v20
	v_fmac_f32_e32 v29, 0xbeb58ec6, v18
	v_add_f32_e32 v30, v30, v33
	;; [unrolled: 11-line block ×3, first 2 shown]
	v_mov_b32_e32 v37, v36
	v_add_f32_e32 v34, v34, v38
	v_fma_f32 v36, v19, s4, -v36
	v_mul_f32_e32 v38, 0xbf52af12, v21
	v_add_f32_e32 v35, v35, v39
	v_fmac_f32_e32 v37, 0x3f62ad3f, v19
	v_add_f32_e32 v36, v36, v40
	v_fma_f32 v39, v18, s3, -v38
	v_mul_f32_e32 v40, 0xbf52af12, v20
	v_mul_f32_e32 v20, 0xbf29c268, v20
	v_add_f32_e32 v37, v37, v41
	v_add_f32_e32 v39, v39, v43
	v_mov_b32_e32 v41, v40
	v_fmac_f32_e32 v38, 0x3f116cb1, v18
	v_mul_f32_e32 v21, 0xbf29c268, v21
	v_mov_b32_e32 v43, v20
	v_fmac_f32_e32 v41, 0x3f116cb1, v19
	v_add_f32_e32 v38, v38, v42
	v_fma_f32 v40, v19, s3, -v40
	v_fma_f32 v42, v18, s12, -v21
	v_fmac_f32_e32 v43, 0xbf3f9e67, v19
	v_fmac_f32_e32 v21, 0xbf3f9e67, v18
	v_fma_f32 v18, v19, s12, -v20
	v_add_f32_e32 v19, v11, v5
	v_sub_f32_e32 v5, v5, v11
	v_add_f32_e32 v17, v18, v17
	v_add_f32_e32 v18, v10, v4
	v_sub_f32_e32 v4, v4, v10
	v_mul_f32_e32 v10, 0xbf6f5d39, v5
	v_fma_f32 v11, v18, s5, -v10
	v_mul_f32_e32 v20, 0xbf6f5d39, v4
	v_fmac_f32_e32 v10, 0xbeb58ec6, v18
	v_add_f32_e32 v16, v21, v16
	v_mov_b32_e32 v21, v20
	v_add_f32_e32 v10, v10, v22
	v_fma_f32 v20, v19, s5, -v20
	v_mul_f32_e32 v22, 0x3f29c268, v5
	v_add_f32_e32 v11, v11, v23
	v_fmac_f32_e32 v21, 0xbeb58ec6, v19
	v_add_f32_e32 v20, v20, v24
	v_fma_f32 v23, v18, s12, -v22
	v_mul_f32_e32 v24, 0x3f29c268, v4
	v_fmac_f32_e32 v22, 0xbf3f9e67, v18
	v_add_f32_e32 v21, v21, v25
	v_mov_b32_e32 v25, v24
	v_add_f32_e32 v22, v22, v26
	v_fma_f32 v24, v19, s12, -v24
	v_mul_f32_e32 v26, 0x3eedf032, v5
	v_add_f32_e32 v23, v23, v27
	v_fmac_f32_e32 v25, 0xbf3f9e67, v19
	v_add_f32_e32 v24, v24, v28
	;; [unrolled: 11-line block ×3, first 2 shown]
	v_fma_f32 v31, v18, s2, -v29
	v_mul_f32_e32 v32, 0xbf7e222b, v4
	v_fmac_f32_e32 v29, 0x3df6dbef, v18
	v_add_f32_e32 v30, v30, v33
	v_mov_b32_e32 v33, v32
	v_add_f32_e32 v29, v29, v34
	v_fma_f32 v32, v19, s2, -v32
	v_mul_f32_e32 v34, 0x3e750f2a, v5
	v_add_f32_e32 v31, v31, v35
	v_add_f32_e32 v32, v32, v36
	v_fma_f32 v35, v18, s16, -v34
	v_mul_f32_e32 v36, 0x3e750f2a, v4
	v_mul_f32_e32 v4, 0x3f52af12, v4
	v_add_f32_e32 v35, v35, v39
	v_fmac_f32_e32 v34, 0xbf788fa5, v18
	v_mul_f32_e32 v5, 0x3f52af12, v5
	v_mov_b32_e32 v39, v4
	v_fma_f32 v4, v19, s3, -v4
	v_add_f32_e32 v34, v34, v38
	v_fma_f32 v38, v18, s3, -v5
	v_fmac_f32_e32 v5, 0x3f116cb1, v18
	v_add_f32_e32 v4, v4, v17
	v_add_f32_e32 v17, v9, v7
	v_sub_f32_e32 v7, v7, v9
	v_add_f32_e32 v5, v5, v16
	v_add_f32_e32 v16, v8, v6
	v_sub_f32_e32 v6, v6, v8
	v_mul_f32_e32 v8, 0xbf29c268, v7
	v_fma_f32 v9, v16, s12, -v8
	v_add_f32_e32 v9, v9, v11
	v_mul_f32_e32 v11, 0xbf29c268, v6
	v_fmac_f32_e32 v8, 0xbf3f9e67, v16
	v_mov_b32_e32 v18, v11
	v_add_f32_e32 v8, v8, v10
	v_fma_f32 v10, v17, s12, -v11
	v_fmac_f32_e32 v33, 0x3df6dbef, v19
	v_fmac_f32_e32 v18, 0xbf3f9e67, v17
	v_add_f32_e32 v10, v10, v20
	v_mul_f32_e32 v20, 0x3f7e222b, v6
	v_add_f32_e32 v33, v33, v37
	v_mov_b32_e32 v37, v36
	v_add_f32_e32 v18, v18, v21
	v_mul_f32_e32 v11, 0x3f7e222b, v7
	v_mov_b32_e32 v21, v20
	v_fma_f32 v20, v17, s2, -v20
	v_fmac_f32_e32 v37, 0xbf788fa5, v19
	v_fma_f32 v36, v19, s16, -v36
	v_fmac_f32_e32 v39, 0x3f116cb1, v19
	;; [unrolled: 2-line block ×3, first 2 shown]
	v_fmac_f32_e32 v11, 0x3df6dbef, v16
	v_add_f32_e32 v20, v20, v24
	v_mul_f32_e32 v24, 0xbf52af12, v6
	v_add_f32_e32 v21, v21, v25
	v_add_f32_e32 v11, v11, v22
	v_mul_f32_e32 v22, 0xbf52af12, v7
	v_mov_b32_e32 v25, v24
	v_fma_f32 v24, v17, s3, -v24
	v_add_f32_e32 v19, v19, v23
	v_fma_f32 v23, v16, s3, -v22
	v_fmac_f32_e32 v22, 0x3f116cb1, v16
	v_add_f32_e32 v28, v24, v28
	v_mul_f32_e32 v24, 0x3e750f2a, v7
	v_fmac_f32_e32 v25, 0x3f116cb1, v17
	v_add_f32_e32 v22, v22, v26
	v_fma_f32 v26, v16, s16, -v24
	v_add_f32_e32 v25, v25, v30
	v_add_f32_e32 v30, v26, v31
	v_mul_f32_e32 v26, 0x3e750f2a, v6
	v_fmac_f32_e32 v24, 0xbf788fa5, v16
	v_add_f32_e32 v29, v24, v29
	v_fma_f32 v24, v17, s16, -v26
	v_add_f32_e32 v23, v23, v27
	v_mov_b32_e32 v27, v26
	v_add_f32_e32 v32, v24, v32
	v_mul_f32_e32 v24, 0x3eedf032, v7
	v_add_f32_e32 v44, v44, v48
	v_fmac_f32_e32 v27, 0xbf788fa5, v17
	v_fma_f32 v26, v16, s4, -v24
	v_add_f32_e32 v46, v46, v50
	v_add_f32_e32 v47, v47, v51
	;; [unrolled: 1-line block ×5, first 2 shown]
	v_mul_f32_e32 v26, 0x3eedf032, v6
	v_fmac_f32_e32 v24, 0x3f62ad3f, v16
	v_add_f32_e32 v45, v45, v49
	v_add_f32_e32 v42, v42, v46
	;; [unrolled: 1-line block ×5, first 2 shown]
	v_fma_f32 v24, v17, s4, -v26
	v_mul_f32_e32 v7, 0xbf6f5d39, v7
	v_sub_f32_e32 v46, v1, v3
	v_add_f32_e32 v41, v41, v45
	v_add_f32_e32 v39, v39, v43
	;; [unrolled: 1-line block ×3, first 2 shown]
	v_fma_f32 v24, v16, s5, -v7
	v_mul_f32_e32 v6, 0xbf6f5d39, v6
	v_fmac_f32_e32 v7, 0xbeb58ec6, v16
	v_add_f32_e32 v43, v2, v0
	v_sub_f32_e32 v45, v0, v2
	v_mul_f32_e32 v2, 0xbe750f2a, v46
	v_add_f32_e32 v37, v37, v41
	v_add_f32_e32 v41, v7, v5
	v_fma_f32 v5, v17, s5, -v6
	v_add_f32_e32 v44, v3, v1
	v_fma_f32 v0, v43, s16, -v2
	v_mul_f32_e32 v3, 0xbe750f2a, v45
	v_fmac_f32_e32 v2, 0xbf788fa5, v43
	v_add_f32_e32 v38, v38, v42
	v_add_f32_e32 v42, v5, v4
	v_add_f32_e32 v34, v2, v8
	v_fma_f32 v2, v44, s16, -v3
	v_mul_f32_e32 v4, 0x3eedf032, v46
	v_mul_f32_e32 v5, 0x3eedf032, v45
	v_mov_b32_e32 v27, v26
	v_mov_b32_e32 v1, v3
	v_add_f32_e32 v35, v2, v10
	v_fma_f32 v2, v43, s4, -v4
	v_mov_b32_e32 v3, v5
	v_fmac_f32_e32 v4, 0x3f62ad3f, v43
	v_fmac_f32_e32 v27, 0x3f62ad3f, v17
	v_add_f32_e32 v38, v24, v38
	v_mov_b32_e32 v24, v6
	v_fmac_f32_e32 v3, 0x3f62ad3f, v44
	v_add_f32_e32 v26, v4, v11
	v_fma_f32 v4, v44, s4, -v5
	v_mul_f32_e32 v6, 0xbf29c268, v46
	v_mul_f32_e32 v7, 0xbf29c268, v45
	v_add_f32_e32 v37, v27, v37
	v_fmac_f32_e32 v24, 0xbeb58ec6, v17
	v_add_f32_e32 v0, v0, v9
	v_add_f32_e32 v3, v3, v21
	v_add_f32_e32 v27, v4, v20
	v_fma_f32 v4, v43, s12, -v6
	v_mov_b32_e32 v5, v7
	v_fmac_f32_e32 v6, 0xbf3f9e67, v43
	v_mul_f32_e32 v9, 0x3f52af12, v45
	v_mul_f32_e32 v17, 0xbf6f5d39, v45
	;; [unrolled: 1-line block ×3, first 2 shown]
	v_add_f32_e32 v39, v24, v39
	v_fmac_f32_e32 v1, 0xbf788fa5, v44
	v_add_f32_e32 v2, v2, v19
	v_fmac_f32_e32 v5, 0xbf3f9e67, v44
	v_add_f32_e32 v24, v6, v22
	v_fma_f32 v6, v44, s12, -v7
	v_mul_f32_e32 v8, 0x3f52af12, v46
	v_mov_b32_e32 v7, v9
	v_mul_f32_e32 v16, 0xbf6f5d39, v46
	v_mov_b32_e32 v11, v17
	;; [unrolled: 2-line block ×3, first 2 shown]
	v_mul_lo_u16_e32 v22, 13, v105
	v_add_f32_e32 v1, v1, v18
	v_add_f32_e32 v5, v5, v25
	v_add_f32_e32 v25, v6, v28
	v_fma_f32 v6, v43, s3, -v8
	v_fmac_f32_e32 v7, 0x3f116cb1, v44
	v_fmac_f32_e32 v8, 0x3f116cb1, v43
	v_fma_f32 v9, v44, s3, -v9
	v_fma_f32 v10, v43, s5, -v16
	v_fmac_f32_e32 v11, 0xbeb58ec6, v44
	v_fmac_f32_e32 v16, 0xbeb58ec6, v43
	v_fma_f32 v17, v44, s5, -v17
	;; [unrolled: 4-line block ×3, first 2 shown]
	v_lshl_add_u32 v56, v22, 3, v107
	v_add_f32_e32 v4, v4, v23
	v_add_f32_e32 v6, v6, v30
	;; [unrolled: 1-line block ×13, first 2 shown]
	s_barrier
	ds_write2_b64 v56, v[12:13], v[0:1] offset1:1
	ds_write2_b64 v56, v[2:3], v[4:5] offset0:2 offset1:3
	ds_write2_b64 v56, v[6:7], v[10:11] offset0:4 offset1:5
	;; [unrolled: 1-line block ×5, first 2 shown]
	ds_write_b64 v56, v[34:35] offset:96
	s_waitcnt lgkmcnt(0)
	s_barrier
	ds_read2_b64 v[30:33], v106 offset1:65
	ds_read2_b64 v[50:53], v106 offset0:169 offset1:234
	ds_read2_b64 v[46:49], v14 offset0:82 offset1:147
	v_add_u32_e32 v0, 0xc00, v106
	ds_read2_b64 v[38:41], v0 offset0:123 offset1:188
	ds_read2_b64 v[42:45], v15 offset0:164 offset1:229
                                        ; implicit-def: $vgpr28
	s_and_saveexec_b64 s[2:3], vcc
	s_cbranch_execz .LBB0_3
; %bb.2:
	v_add_u32_e32 v1, 0x400, v106
	ds_read2_b64 v[24:27], v1 offset0:2 offset1:171
	ds_read2_b64 v[34:37], v0 offset0:84 offset1:253
	ds_read_b64 v[28:29], v106 offset:6448
.LBB0_3:
	s_or_b64 exec, exec, s[2:3]
	s_movk_i32 s2, 0x4f
	v_mul_lo_u16_sdwa v0, v105, s2 dst_sel:DWORD dst_unused:UNUSED_PAD src0_sel:BYTE_0 src1_sel:DWORD
	v_lshrrev_b16_e32 v68, 10, v0
	v_mul_lo_u16_e32 v0, 13, v68
	v_sub_u16_e32 v69, v105, v0
	v_mov_b32_e32 v0, 5
	v_lshlrev_b32_sdwa v1, v0, v69 dst_sel:DWORD dst_unused:UNUSED_PAD src0_sel:DWORD src1_sel:BYTE_0
	global_load_dwordx4 v[12:15], v1, s[14:15]
	global_load_dwordx4 v[8:11], v1, s[14:15] offset:16
	v_add_u16_e32 v1, 0x41, v105
	v_mul_lo_u16_sdwa v2, v1, s2 dst_sel:DWORD dst_unused:UNUSED_PAD src0_sel:BYTE_0 src1_sel:DWORD
	v_lshrrev_b16_e32 v70, 10, v2
	v_mul_lo_u16_e32 v2, 13, v70
	v_sub_u16_e32 v71, v1, v2
	v_lshlrev_b32_sdwa v1, v0, v71 dst_sel:DWORD dst_unused:UNUSED_PAD src0_sel:DWORD src1_sel:BYTE_0
	global_load_dwordx4 v[20:23], v1, s[14:15]
	global_load_dwordx4 v[16:19], v1, s[14:15] offset:16
	v_add_u16_e32 v1, 0x82, v105
	v_mul_lo_u16_sdwa v2, v1, s2 dst_sel:DWORD dst_unused:UNUSED_PAD src0_sel:BYTE_0 src1_sel:DWORD
	v_lshrrev_b16_e32 v108, 10, v2
	v_mul_lo_u16_e32 v2, 13, v108
	v_sub_u16_e32 v109, v1, v2
	v_lshlrev_b32_sdwa v55, v0, v109 dst_sel:DWORD dst_unused:UNUSED_PAD src0_sel:DWORD src1_sel:BYTE_0
	global_load_dwordx4 v[4:7], v55, s[14:15]
	global_load_dwordx4 v[0:3], v55, s[14:15] offset:16
	s_waitcnt vmcnt(0) lgkmcnt(0)
	s_barrier
	v_mul_f32_e32 v60, v51, v13
	v_mul_f32_e32 v65, v38, v9
	;; [unrolled: 1-line block ×6, first 2 shown]
	v_fma_f32 v60, v50, v12, -v60
	v_fmac_f32_e32 v65, v39, v8
	v_mul_f32_e32 v104, v40, v17
	v_mul_f32_e32 v110, v45, v19
	v_fma_f32 v39, v42, v10, -v66
	v_mul_f32_e32 v63, v46, v15
	v_mul_f32_e32 v74, v49, v23
	;; [unrolled: 1-line block ×6, first 2 shown]
	v_fmac_f32_e32 v61, v51, v12
	v_fma_f32 v51, v46, v14, -v62
	v_fmac_f32_e32 v104, v41, v16
	v_fma_f32 v41, v44, v18, -v110
	v_fmac_f32_e32 v59, v29, v2
	v_add_f32_e32 v29, v30, v60
	v_add_f32_e32 v44, v60, v39
	v_mul_f32_e32 v67, v42, v11
	v_mul_f32_e32 v75, v48, v23
	;; [unrolled: 1-line block ×4, first 2 shown]
	v_fmac_f32_e32 v63, v47, v14
	v_fma_f32 v74, v48, v22, -v74
	v_fma_f32 v38, v38, v8, -v64
	v_add_f32_e32 v29, v29, v51
	v_fma_f32 v48, -0.5, v44, v30
	v_mul_f32_e32 v72, v53, v21
	v_mul_f32_e32 v55, v26, v5
	;; [unrolled: 1-line block ×4, first 2 shown]
	v_fmac_f32_e32 v67, v43, v10
	v_fmac_f32_e32 v57, v35, v6
	;; [unrolled: 1-line block ×3, first 2 shown]
	v_add_f32_e32 v35, v51, v38
	v_sub_f32_e32 v37, v63, v65
	v_add_f32_e32 v29, v29, v38
	v_mov_b32_e32 v50, v48
	v_mul_f32_e32 v73, v52, v21
	v_mul_f32_e32 v112, v27, v5
	v_fma_f32 v72, v52, v20, -v72
	v_fmac_f32_e32 v55, v27, v4
	v_fma_f32 v27, v34, v6, -v113
	v_fma_f32 v34, v36, v0, -v114
	v_sub_f32_e32 v36, v61, v67
	v_fma_f32 v46, -0.5, v35, v30
	v_add_f32_e32 v52, v29, v39
	v_fmac_f32_e32 v50, 0xbf737871, v37
	v_sub_f32_e32 v29, v51, v60
	v_sub_f32_e32 v30, v38, v39
	v_fmac_f32_e32 v48, 0x3f737871, v37
	v_fmac_f32_e32 v50, 0x3f167918, v36
	v_add_f32_e32 v29, v29, v30
	v_fmac_f32_e32 v48, 0xbf167918, v36
	v_fmac_f32_e32 v50, 0x3e9e377a, v29
	;; [unrolled: 1-line block ×3, first 2 shown]
	v_add_f32_e32 v29, v31, v61
	v_add_f32_e32 v29, v29, v63
	v_sub_f32_e32 v42, v60, v51
	v_sub_f32_e32 v43, v39, v38
	v_add_f32_e32 v29, v29, v65
	v_fmac_f32_e32 v73, v53, v20
	v_add_f32_e32 v35, v42, v43
	v_mov_b32_e32 v43, v46
	v_add_f32_e32 v53, v29, v67
	v_add_f32_e32 v29, v63, v65
	v_fmac_f32_e32 v46, 0xbf737871, v36
	v_fmac_f32_e32 v43, 0x3f737871, v36
	v_fma_f32 v47, -0.5, v29, v31
	v_fmac_f32_e32 v46, 0xbf167918, v37
	v_fmac_f32_e32 v43, 0x3f167918, v37
	v_sub_f32_e32 v29, v60, v39
	v_mov_b32_e32 v44, v47
	v_fmac_f32_e32 v46, 0x3e9e377a, v35
	v_fmac_f32_e32 v43, 0x3e9e377a, v35
	;; [unrolled: 1-line block ×3, first 2 shown]
	v_sub_f32_e32 v30, v51, v38
	v_sub_f32_e32 v35, v61, v63
	;; [unrolled: 1-line block ×3, first 2 shown]
	v_fmac_f32_e32 v47, 0x3f737871, v29
	v_fmac_f32_e32 v44, 0xbf167918, v30
	v_add_f32_e32 v35, v35, v36
	v_fmac_f32_e32 v47, 0x3f167918, v30
	v_fmac_f32_e32 v44, 0x3e9e377a, v35
	;; [unrolled: 1-line block ×3, first 2 shown]
	v_add_f32_e32 v35, v61, v67
	v_fmac_f32_e32 v75, v49, v22
	v_fma_f32 v49, -0.5, v35, v31
	v_mov_b32_e32 v51, v49
	v_fmac_f32_e32 v51, 0x3f737871, v30
	v_fmac_f32_e32 v49, 0xbf737871, v30
	;; [unrolled: 1-line block ×4, first 2 shown]
	v_add_f32_e32 v29, v32, v72
	v_fma_f32 v40, v40, v16, -v103
	v_add_f32_e32 v29, v29, v74
	v_add_f32_e32 v29, v29, v40
	;; [unrolled: 1-line block ×4, first 2 shown]
	v_fmac_f32_e32 v111, v45, v18
	v_sub_f32_e32 v31, v63, v61
	v_sub_f32_e32 v35, v65, v67
	v_fma_f32 v62, -0.5, v29, v32
	v_add_f32_e32 v31, v31, v35
	v_sub_f32_e32 v29, v73, v111
	v_mov_b32_e32 v64, v62
	v_fmac_f32_e32 v51, 0x3e9e377a, v31
	v_fmac_f32_e32 v49, 0x3e9e377a, v31
	;; [unrolled: 1-line block ×3, first 2 shown]
	v_sub_f32_e32 v30, v75, v104
	v_sub_f32_e32 v31, v72, v74
	;; [unrolled: 1-line block ×3, first 2 shown]
	v_fmac_f32_e32 v62, 0xbf737871, v29
	v_fmac_f32_e32 v64, 0x3f167918, v30
	v_add_f32_e32 v31, v31, v35
	v_fmac_f32_e32 v62, 0xbf167918, v30
	v_fmac_f32_e32 v64, 0x3e9e377a, v31
	;; [unrolled: 1-line block ×3, first 2 shown]
	v_add_f32_e32 v31, v72, v41
	v_fma_f32 v32, -0.5, v31, v32
	v_mov_b32_e32 v66, v32
	v_fmac_f32_e32 v66, 0xbf737871, v30
	v_fmac_f32_e32 v32, 0x3f737871, v30
	;; [unrolled: 1-line block ×4, first 2 shown]
	v_add_f32_e32 v29, v33, v73
	v_add_f32_e32 v29, v29, v75
	;; [unrolled: 1-line block ×5, first 2 shown]
	v_sub_f32_e32 v31, v74, v72
	v_sub_f32_e32 v35, v40, v41
	v_fma_f32 v63, -0.5, v29, v33
	v_add_f32_e32 v31, v31, v35
	v_sub_f32_e32 v29, v72, v41
	v_mov_b32_e32 v65, v63
	v_fmac_f32_e32 v66, 0x3e9e377a, v31
	v_fmac_f32_e32 v32, 0x3e9e377a, v31
	;; [unrolled: 1-line block ×3, first 2 shown]
	v_sub_f32_e32 v30, v74, v40
	v_sub_f32_e32 v31, v73, v75
	;; [unrolled: 1-line block ×3, first 2 shown]
	v_fmac_f32_e32 v63, 0x3f737871, v29
	v_fmac_f32_e32 v65, 0xbf167918, v30
	v_add_f32_e32 v31, v31, v35
	v_fmac_f32_e32 v63, 0x3f167918, v30
	v_fmac_f32_e32 v65, 0x3e9e377a, v31
	;; [unrolled: 1-line block ×3, first 2 shown]
	v_add_f32_e32 v31, v73, v111
	v_fmac_f32_e32 v33, -0.5, v31
	v_mov_b32_e32 v67, v33
	v_fmac_f32_e32 v67, 0x3f737871, v30
	v_sub_f32_e32 v31, v75, v73
	v_sub_f32_e32 v35, v104, v111
	v_fmac_f32_e32 v33, 0xbf737871, v30
	v_fma_f32 v26, v26, v4, -v112
	v_fma_f32 v28, v28, v2, -v115
	v_fmac_f32_e32 v67, 0xbf167918, v29
	v_add_f32_e32 v31, v31, v35
	v_fmac_f32_e32 v33, 0x3f167918, v29
	v_fmac_f32_e32 v67, 0x3e9e377a, v31
	;; [unrolled: 1-line block ×3, first 2 shown]
	v_sub_f32_e32 v30, v26, v27
	v_sub_f32_e32 v31, v28, v34
	v_add_f32_e32 v38, v30, v31
	v_add_f32_e32 v30, v26, v28
	v_fma_f32 v35, -0.5, v30, v24
	v_sub_f32_e32 v30, v27, v26
	v_sub_f32_e32 v31, v34, v28
	v_add_f32_e32 v40, v30, v31
	v_add_f32_e32 v31, v57, v58
	v_fma_f32 v39, -0.5, v31, v25
	v_mul_u32_u24_e32 v31, 0x41, v68
	v_add_u32_sdwa v31, v31, v69 dst_sel:DWORD dst_unused:UNUSED_PAD src0_sel:DWORD src1_sel:BYTE_0
	v_lshl_add_u32 v110, v31, 3, v107
	ds_write2_b64 v110, v[52:53], v[43:44] offset1:13
	v_sub_f32_e32 v31, v55, v57
	v_sub_f32_e32 v43, v59, v58
	v_add_f32_e32 v29, v27, v34
	v_add_f32_e32 v43, v31, v43
	;; [unrolled: 1-line block ×3, first 2 shown]
	v_fma_f32 v29, -0.5, v29, v24
	v_fma_f32 v44, -0.5, v31, v25
	v_sub_f32_e32 v31, v57, v55
	v_sub_f32_e32 v45, v58, v59
	;; [unrolled: 1-line block ×4, first 2 shown]
	v_mov_b32_e32 v103, v29
	v_mov_b32_e32 v30, v35
	v_sub_f32_e32 v41, v26, v28
	v_sub_f32_e32 v42, v27, v34
	v_mov_b32_e32 v104, v39
	v_add_f32_e32 v45, v31, v45
	v_mov_b32_e32 v31, v44
	v_fmac_f32_e32 v103, 0xbf737871, v36
	v_fmac_f32_e32 v30, 0x3f737871, v37
	;; [unrolled: 1-line block ×4, first 2 shown]
	ds_write2_b64 v110, v[50:51], v[48:49] offset0:26 offset1:39
	ds_write_b64 v110, v[46:47] offset:416
	v_mul_u32_u24_e32 v46, 0x41, v70
	v_fmac_f32_e32 v103, 0xbf167918, v37
	v_fmac_f32_e32 v30, 0xbf167918, v36
	;; [unrolled: 1-line block ×4, first 2 shown]
	v_add_u32_sdwa v46, v46, v71 dst_sel:DWORD dst_unused:UNUSED_PAD src0_sel:DWORD src1_sel:BYTE_0
	v_fmac_f32_e32 v103, 0x3e9e377a, v38
	v_fmac_f32_e32 v30, 0x3e9e377a, v40
	;; [unrolled: 1-line block ×4, first 2 shown]
	v_lshl_add_u32 v111, v46, 3, v107
	ds_write2_b64 v111, v[60:61], v[64:65] offset1:13
	ds_write2_b64 v111, v[66:67], v[32:33] offset0:26 offset1:39
	ds_write_b64 v111, v[62:63] offset:416
	s_and_saveexec_b64 s[2:3], vcc
	s_cbranch_execz .LBB0_5
; %bb.4:
	v_mul_f32_e32 v46, 0x3f737871, v36
	v_mul_f32_e32 v47, 0x3f167918, v37
	;; [unrolled: 1-line block ×5, first 2 shown]
	v_add_f32_e32 v25, v25, v55
	v_add_f32_e32 v24, v24, v26
	v_mul_f32_e32 v48, 0x3f167918, v42
	v_mul_f32_e32 v33, 0x3f737871, v42
	v_sub_f32_e32 v36, v39, v36
	v_add_f32_e32 v25, v25, v57
	v_add_f32_e32 v29, v29, v46
	;; [unrolled: 1-line block ×3, first 2 shown]
	v_mul_u32_u24_e32 v26, 0x41, v108
	v_mul_f32_e32 v38, 0x3e9e377a, v38
	v_mul_f32_e32 v43, 0x3e9e377a, v43
	;; [unrolled: 1-line block ×3, first 2 shown]
	v_add_f32_e32 v33, v33, v44
	v_sub_f32_e32 v36, v36, v48
	v_add_f32_e32 v25, v25, v58
	v_sub_f32_e32 v32, v35, v32
	v_add_f32_e32 v29, v47, v29
	v_add_f32_e32 v24, v24, v34
	v_add_u32_sdwa v26, v26, v109 dst_sel:DWORD dst_unused:UNUSED_PAD src0_sel:DWORD src1_sel:BYTE_0
	v_mul_f32_e32 v40, 0x3e9e377a, v40
	v_mul_f32_e32 v42, 0x3e9e377a, v45
	v_sub_f32_e32 v33, v33, v41
	v_add_f32_e32 v36, v43, v36
	v_add_f32_e32 v25, v25, v59
	;; [unrolled: 1-line block ×5, first 2 shown]
	v_lshl_add_u32 v26, v26, 3, v107
	v_add_f32_e32 v33, v42, v33
	v_add_f32_e32 v32, v40, v32
	ds_write2_b64 v26, v[24:25], v[35:36] offset1:13
	ds_write2_b64 v26, v[32:33], v[30:31] offset0:26 offset1:39
	ds_write_b64 v26, v[103:104] offset:416
.LBB0_5:
	s_or_b64 exec, exec, s[2:3]
	v_mov_b32_e32 v25, s15
	s_movk_i32 s2, 0x60
	v_mov_b32_e32 v24, s14
	v_mad_u64_u32 v[28:29], s[2:3], v105, s2, v[24:25]
	s_waitcnt lgkmcnt(0)
	s_barrier
	global_load_dwordx4 v[44:47], v[28:29], off offset:416
	global_load_dwordx4 v[36:39], v[28:29], off offset:432
	;; [unrolled: 1-line block ×6, first 2 shown]
	ds_read2_b64 v[62:65], v106 offset1:65
	ds_read2_b64 v[66:69], v106 offset0:130 offset1:195
	ds_read_b64 v[52:53], v106 offset:6240
	v_add_u32_e32 v61, 0x800, v106
	v_add_u32_e32 v60, 0x1000, v106
	ds_read2_b64 v[70:73], v61 offset0:4 offset1:69
	ds_read2_b64 v[112:115], v61 offset0:134 offset1:199
	;; [unrolled: 1-line block ×4, first 2 shown]
	v_mov_b32_e32 v28, s13
	s_mov_b32 s3, 0x3f116cb1
	s_mov_b32 s2, 0x3df6dbef
	;; [unrolled: 1-line block ×3, first 2 shown]
	s_movk_i32 s14, 0x1000
	v_addc_co_u32_e64 v28, s[0:1], 0, v28, s[0:1]
	s_movk_i32 s15, 0x1a68
	s_waitcnt vmcnt(5) lgkmcnt(6)
	v_mul_f32_e32 v55, v64, v45
	v_mul_f32_e32 v29, v65, v45
	s_waitcnt lgkmcnt(5)
	v_mul_f32_e32 v58, v66, v47
	v_fmac_f32_e32 v55, v65, v44
	v_mul_f32_e32 v57, v67, v47
	s_waitcnt vmcnt(0) lgkmcnt(4)
	v_mul_f32_e32 v140, v52, v43
	v_mul_f32_e32 v74, v68, v37
	s_waitcnt lgkmcnt(3)
	v_mul_f32_e32 v125, v73, v33
	v_mul_f32_e32 v139, v53, v43
	v_fma_f32 v29, v64, v44, -v29
	v_fmac_f32_e32 v58, v67, v46
	v_fmac_f32_e32 v140, v53, v42
	v_add_f32_e32 v53, v63, v55
	v_mul_f32_e32 v59, v69, v37
	v_mul_f32_e32 v124, v70, v39
	;; [unrolled: 1-line block ×3, first 2 shown]
	v_fma_f32 v57, v66, v46, -v57
	v_fmac_f32_e32 v74, v69, v36
	v_fma_f32 v65, v72, v32, -v125
	v_fma_f32 v72, v52, v42, -v139
	v_add_f32_e32 v52, v62, v29
	v_add_f32_e32 v53, v53, v58
	v_mul_f32_e32 v75, v71, v39
	v_fma_f32 v59, v68, v36, -v59
	v_fmac_f32_e32 v124, v71, v38
	v_add_f32_e32 v52, v52, v57
	v_add_f32_e32 v53, v53, v74
	s_waitcnt lgkmcnt(2)
	v_mul_f32_e32 v128, v112, v35
	v_fma_f32 v64, v70, v38, -v75
	v_fmac_f32_e32 v126, v73, v32
	v_add_f32_e32 v52, v52, v59
	v_add_f32_e32 v53, v53, v124
	v_mul_f32_e32 v127, v113, v35
	v_mul_f32_e32 v130, v114, v25
	v_fmac_f32_e32 v128, v113, v34
	v_add_f32_e32 v52, v52, v64
	v_add_f32_e32 v53, v53, v126
	v_mul_f32_e32 v129, v115, v25
	s_waitcnt lgkmcnt(1)
	v_mul_f32_e32 v132, v116, v27
	v_fma_f32 v66, v112, v34, -v127
	v_fmac_f32_e32 v130, v115, v24
	v_add_f32_e32 v52, v52, v65
	v_add_f32_e32 v53, v53, v128
	v_mul_f32_e32 v131, v117, v27
	v_mul_f32_e32 v134, v118, v49
	v_fma_f32 v67, v114, v24, -v129
	v_fmac_f32_e32 v132, v117, v26
	v_add_f32_e32 v52, v52, v66
	v_add_f32_e32 v53, v53, v130
	v_mul_f32_e32 v133, v119, v49
	s_waitcnt lgkmcnt(0)
	v_mul_f32_e32 v136, v120, v51
	v_fma_f32 v68, v116, v26, -v131
	v_fmac_f32_e32 v134, v119, v48
	v_add_f32_e32 v52, v52, v67
	v_add_f32_e32 v53, v53, v132
	v_mul_f32_e32 v135, v121, v51
	v_mul_f32_e32 v138, v122, v41
	v_fma_f32 v69, v118, v48, -v133
	v_fmac_f32_e32 v136, v121, v50
	v_add_f32_e32 v52, v52, v68
	v_add_f32_e32 v53, v53, v134
	v_mul_f32_e32 v137, v123, v41
	v_fma_f32 v70, v120, v50, -v135
	v_fmac_f32_e32 v138, v123, v40
	v_add_f32_e32 v73, v29, v72
	v_add_f32_e32 v52, v52, v69
	;; [unrolled: 1-line block ×3, first 2 shown]
	v_sub_f32_e32 v29, v29, v72
	v_fma_f32 v71, v122, v40, -v137
	v_add_f32_e32 v52, v52, v70
	v_add_f32_e32 v53, v53, v138
	v_mul_f32_e32 v113, 0xbeedf032, v29
	v_mul_f32_e32 v117, 0xbf52af12, v29
	;; [unrolled: 1-line block ×6, first 2 shown]
	v_add_f32_e32 v52, v52, v71
	v_add_f32_e32 v53, v53, v140
	;; [unrolled: 1-line block ×3, first 2 shown]
	v_sub_f32_e32 v55, v55, v140
	v_mov_b32_e32 v114, v113
	v_mov_b32_e32 v118, v117
	;; [unrolled: 1-line block ×6, first 2 shown]
	v_add_f32_e32 v52, v52, v72
	v_mul_f32_e32 v72, 0xbeedf032, v55
	v_fmac_f32_e32 v114, 0x3f62ad3f, v75
	v_fma_f32 v113, v75, s4, -v113
	v_mul_f32_e32 v115, 0xbf52af12, v55
	v_fmac_f32_e32 v118, 0x3f116cb1, v75
	v_fma_f32 v117, v75, s3, -v117
	;; [unrolled: 3-line block ×6, first 2 shown]
	v_fma_f32 v112, v73, s4, -v72
	v_add_f32_e32 v114, v63, v114
	v_fmac_f32_e32 v72, 0x3f62ad3f, v73
	v_add_f32_e32 v113, v63, v113
	v_fma_f32 v116, v73, s3, -v115
	v_add_f32_e32 v118, v63, v118
	v_fmac_f32_e32 v115, 0x3f116cb1, v73
	v_add_f32_e32 v117, v63, v117
	;; [unrolled: 4-line block ×6, first 2 shown]
	v_add_f32_e32 v63, v58, v138
	v_sub_f32_e32 v58, v58, v138
	v_add_f32_e32 v112, v62, v112
	v_add_f32_e32 v72, v62, v72
	;; [unrolled: 1-line block ×13, first 2 shown]
	v_sub_f32_e32 v57, v57, v71
	v_mul_f32_e32 v71, 0xbf52af12, v58
	v_fma_f32 v73, v62, s3, -v71
	v_mul_f32_e32 v75, 0xbf52af12, v57
	v_add_f32_e32 v73, v73, v112
	v_mov_b32_e32 v112, v75
	v_fmac_f32_e32 v71, 0x3f116cb1, v62
	v_fmac_f32_e32 v112, 0x3f116cb1, v63
	v_add_f32_e32 v71, v71, v72
	v_fma_f32 v72, v63, s3, -v75
	v_mul_f32_e32 v75, 0xbf6f5d39, v58
	v_add_f32_e32 v112, v112, v114
	v_add_f32_e32 v72, v72, v113
	v_fma_f32 v113, v62, s5, -v75
	v_mul_f32_e32 v114, 0xbf6f5d39, v57
	v_add_f32_e32 v113, v113, v116
	v_mov_b32_e32 v116, v114
	v_fmac_f32_e32 v75, 0xbeb58ec6, v62
	v_fmac_f32_e32 v116, 0xbeb58ec6, v63
	v_add_f32_e32 v75, v75, v115
	v_fma_f32 v114, v63, s5, -v114
	v_mul_f32_e32 v115, 0xbe750f2a, v58
	v_add_f32_e32 v116, v116, v118
	v_add_f32_e32 v114, v114, v117
	;; [unrolled: 11-line block ×4, first 2 shown]
	v_fma_f32 v127, v62, s2, -v123
	v_mul_f32_e32 v129, 0x3f7e222b, v57
	v_add_f32_e32 v127, v127, v133
	v_mov_b32_e32 v133, v129
	v_fmac_f32_e32 v123, 0x3df6dbef, v62
	v_fma_f32 v129, v63, s2, -v129
	v_mul_f32_e32 v58, 0x3eedf032, v58
	v_mul_f32_e32 v57, 0x3eedf032, v57
	v_add_f32_e32 v123, v123, v131
	v_add_f32_e32 v129, v129, v135
	v_fma_f32 v131, v62, s4, -v58
	v_mov_b32_e32 v135, v57
	v_fmac_f32_e32 v58, 0x3f62ad3f, v62
	v_fma_f32 v57, v63, s4, -v57
	v_sub_f32_e32 v62, v74, v136
	v_fmac_f32_e32 v133, 0x3df6dbef, v63
	v_fmac_f32_e32 v135, 0x3f62ad3f, v63
	v_add_f32_e32 v29, v57, v29
	v_add_f32_e32 v57, v59, v70
	v_mul_f32_e32 v63, 0xbf7e222b, v62
	v_sub_f32_e32 v59, v59, v70
	v_fma_f32 v70, v57, s2, -v63
	v_add_f32_e32 v55, v58, v55
	v_add_f32_e32 v58, v74, v136
	;; [unrolled: 1-line block ×3, first 2 shown]
	v_mul_f32_e32 v73, 0xbf7e222b, v59
	v_fmac_f32_e32 v63, 0x3df6dbef, v57
	v_mov_b32_e32 v74, v73
	v_add_f32_e32 v63, v63, v71
	v_fma_f32 v71, v58, s2, -v73
	v_fmac_f32_e32 v74, 0x3df6dbef, v58
	v_add_f32_e32 v71, v71, v72
	v_mul_f32_e32 v72, 0xbe750f2a, v62
	v_add_f32_e32 v74, v74, v112
	v_fma_f32 v73, v57, s13, -v72
	v_mul_f32_e32 v112, 0xbe750f2a, v59
	v_add_f32_e32 v73, v73, v113
	v_mov_b32_e32 v113, v112
	v_fmac_f32_e32 v72, 0xbf788fa5, v57
	v_fmac_f32_e32 v113, 0xbf788fa5, v58
	v_add_f32_e32 v72, v72, v75
	v_fma_f32 v75, v58, s13, -v112
	v_mul_f32_e32 v112, 0x3f6f5d39, v62
	v_add_f32_e32 v113, v113, v116
	v_add_f32_e32 v75, v75, v114
	v_fma_f32 v114, v57, s5, -v112
	v_mul_f32_e32 v116, 0x3f6f5d39, v59
	v_add_f32_e32 v114, v114, v117
	v_mov_b32_e32 v117, v116
	v_fmac_f32_e32 v112, 0xbeb58ec6, v57
	v_fmac_f32_e32 v117, 0xbeb58ec6, v58
	v_add_f32_e32 v112, v112, v115
	v_fma_f32 v115, v58, s5, -v116
	v_mul_f32_e32 v116, 0x3eedf032, v62
	v_add_f32_e32 v117, v117, v120
	;; [unrolled: 11-line block ×3, first 2 shown]
	v_add_f32_e32 v119, v119, v122
	v_fma_f32 v122, v57, s3, -v120
	v_mul_f32_e32 v125, 0xbf52af12, v59
	v_fmac_f32_e32 v120, 0x3f116cb1, v57
	v_mul_f32_e32 v62, 0xbf29c268, v62
	v_add_f32_e32 v122, v122, v127
	v_mov_b32_e32 v127, v125
	v_add_f32_e32 v120, v120, v123
	v_fma_f32 v123, v58, s3, -v125
	v_fma_f32 v125, v57, s12, -v62
	v_mul_f32_e32 v59, 0xbf29c268, v59
	v_fmac_f32_e32 v62, 0xbf3f9e67, v57
	v_add_f32_e32 v55, v62, v55
	v_fma_f32 v57, v58, s12, -v59
	v_sub_f32_e32 v62, v124, v134
	v_add_f32_e32 v123, v123, v129
	v_mov_b32_e32 v129, v59
	v_add_f32_e32 v29, v57, v29
	v_add_f32_e32 v57, v64, v69
	v_sub_f32_e32 v59, v64, v69
	v_mul_f32_e32 v64, 0xbf6f5d39, v62
	v_fma_f32 v69, v57, s5, -v64
	v_fmac_f32_e32 v127, 0x3f116cb1, v58
	v_fmac_f32_e32 v129, 0xbf3f9e67, v58
	v_add_f32_e32 v58, v124, v134
	v_add_f32_e32 v69, v69, v70
	v_mul_f32_e32 v70, 0xbf6f5d39, v59
	v_fmac_f32_e32 v64, 0xbeb58ec6, v57
	v_mov_b32_e32 v124, v70
	v_add_f32_e32 v63, v64, v63
	v_fma_f32 v64, v58, s5, -v70
	v_mul_f32_e32 v70, 0x3f29c268, v62
	v_add_f32_e32 v64, v64, v71
	v_fma_f32 v71, v57, s12, -v70
	v_fmac_f32_e32 v124, 0xbeb58ec6, v58
	v_add_f32_e32 v71, v71, v73
	v_mul_f32_e32 v73, 0x3f29c268, v59
	v_fmac_f32_e32 v70, 0xbf3f9e67, v57
	v_add_f32_e32 v74, v124, v74
	v_mov_b32_e32 v124, v73
	v_add_f32_e32 v70, v70, v72
	v_fma_f32 v72, v58, s12, -v73
	v_mul_f32_e32 v73, 0x3eedf032, v62
	v_add_f32_e32 v72, v72, v75
	v_fma_f32 v75, v57, s4, -v73
	v_fmac_f32_e32 v124, 0xbf3f9e67, v58
	v_add_f32_e32 v75, v75, v114
	v_mul_f32_e32 v114, 0x3eedf032, v59
	v_fmac_f32_e32 v73, 0x3f62ad3f, v57
	v_add_f32_e32 v113, v124, v113
	;; [unrolled: 11-line block ×3, first 2 shown]
	v_mov_b32_e32 v124, v118
	v_add_f32_e32 v114, v114, v116
	v_fma_f32 v116, v58, s2, -v118
	v_mul_f32_e32 v118, 0x3e750f2a, v62
	v_add_f32_e32 v116, v116, v119
	v_fma_f32 v119, v57, s13, -v118
	v_fmac_f32_e32 v124, 0x3df6dbef, v58
	v_add_f32_e32 v119, v119, v122
	v_mul_f32_e32 v122, 0x3e750f2a, v59
	v_fmac_f32_e32 v118, 0xbf788fa5, v57
	v_mul_f32_e32 v62, 0x3f52af12, v62
	v_add_f32_e32 v121, v124, v121
	v_mov_b32_e32 v124, v122
	v_add_f32_e32 v118, v118, v120
	v_fma_f32 v120, v58, s13, -v122
	v_fma_f32 v122, v57, s3, -v62
	v_mul_f32_e32 v59, 0x3f52af12, v59
	v_fmac_f32_e32 v62, 0x3f116cb1, v57
	v_add_f32_e32 v55, v62, v55
	v_fma_f32 v57, v58, s3, -v59
	v_sub_f32_e32 v62, v126, v132
	v_add_f32_e32 v120, v120, v123
	v_mov_b32_e32 v123, v59
	v_add_f32_e32 v29, v57, v29
	v_add_f32_e32 v57, v65, v68
	v_sub_f32_e32 v59, v65, v68
	v_mul_f32_e32 v65, 0xbf29c268, v62
	v_fma_f32 v68, v57, s12, -v65
	v_fmac_f32_e32 v124, 0xbf788fa5, v58
	v_fmac_f32_e32 v123, 0x3f116cb1, v58
	v_add_f32_e32 v58, v126, v132
	v_add_f32_e32 v68, v68, v69
	v_mul_f32_e32 v69, 0xbf29c268, v59
	v_fmac_f32_e32 v65, 0xbf3f9e67, v57
	v_add_f32_e32 v131, v131, v139
	v_add_f32_e32 v63, v65, v63
	v_fma_f32 v65, v58, s12, -v69
	v_add_f32_e32 v125, v125, v131
	v_add_f32_e32 v64, v65, v64
	v_mul_f32_e32 v65, 0x3f7e222b, v62
	v_add_f32_e32 v122, v122, v125
	v_mov_b32_e32 v125, v69
	v_fma_f32 v69, v57, s2, -v65
	v_add_f32_e32 v69, v69, v71
	v_mul_f32_e32 v71, 0x3f7e222b, v59
	v_fmac_f32_e32 v65, 0x3df6dbef, v57
	v_fmac_f32_e32 v125, 0xbf3f9e67, v58
	v_add_f32_e32 v70, v65, v70
	v_fma_f32 v65, v58, s2, -v71
	v_add_f32_e32 v74, v125, v74
	v_mov_b32_e32 v125, v71
	v_add_f32_e32 v71, v65, v72
	v_mul_f32_e32 v65, 0xbf52af12, v62
	v_fma_f32 v72, v57, s3, -v65
	v_add_f32_e32 v72, v72, v75
	v_mul_f32_e32 v75, 0xbf52af12, v59
	v_fmac_f32_e32 v65, 0x3f116cb1, v57
	v_fmac_f32_e32 v125, 0x3df6dbef, v58
	v_add_f32_e32 v73, v65, v73
	v_fma_f32 v65, v58, s3, -v75
	v_add_f32_e32 v113, v125, v113
	v_mov_b32_e32 v125, v75
	v_add_f32_e32 v75, v65, v112
	v_mul_f32_e32 v65, 0x3e750f2a, v62
	;; [unrolled: 11-line block ×3, first 2 shown]
	v_fma_f32 v116, v57, s4, -v65
	v_add_f32_e32 v116, v116, v119
	v_mul_f32_e32 v119, 0x3eedf032, v59
	v_fmac_f32_e32 v65, 0x3f62ad3f, v57
	v_add_f32_e32 v133, v133, v137
	v_fmac_f32_e32 v125, 0xbf788fa5, v58
	v_add_f32_e32 v118, v65, v118
	v_fma_f32 v65, v58, s4, -v119
	v_mul_f32_e32 v62, 0xbf6f5d39, v62
	v_add_f32_e32 v135, v135, v140
	v_add_f32_e32 v127, v127, v133
	;; [unrolled: 1-line block ×3, first 2 shown]
	v_mov_b32_e32 v125, v119
	v_add_f32_e32 v119, v65, v120
	v_fma_f32 v65, v57, s5, -v62
	v_mul_f32_e32 v59, 0xbf6f5d39, v59
	v_add_f32_e32 v129, v129, v135
	v_add_f32_e32 v124, v124, v127
	v_fmac_f32_e32 v125, 0x3f62ad3f, v58
	v_add_f32_e32 v120, v65, v122
	v_mov_b32_e32 v65, v59
	v_fmac_f32_e32 v62, 0xbeb58ec6, v57
	v_sub_f32_e32 v126, v128, v130
	v_add_f32_e32 v123, v123, v129
	v_add_f32_e32 v124, v125, v124
	v_fmac_f32_e32 v65, 0xbeb58ec6, v58
	v_add_f32_e32 v55, v62, v55
	v_fma_f32 v57, v58, s5, -v59
	v_add_f32_e32 v59, v66, v67
	v_sub_f32_e32 v125, v66, v67
	v_mul_f32_e32 v62, 0xbe750f2a, v126
	v_add_f32_e32 v122, v65, v123
	v_add_f32_e32 v29, v57, v29
	;; [unrolled: 1-line block ×3, first 2 shown]
	v_fma_f32 v57, v59, s13, -v62
	v_mul_f32_e32 v65, 0xbe750f2a, v125
	v_fmac_f32_e32 v62, 0xbf788fa5, v59
	v_mul_f32_e32 v67, 0x3eedf032, v125
	v_mov_b32_e32 v58, v65
	v_add_f32_e32 v62, v62, v63
	v_fma_f32 v63, v123, s13, -v65
	v_mul_f32_e32 v66, 0x3eedf032, v126
	v_mov_b32_e32 v65, v67
	v_fma_f32 v67, v123, s4, -v67
	v_add_f32_e32 v63, v63, v64
	v_fma_f32 v64, v59, s4, -v66
	v_fmac_f32_e32 v66, 0x3f62ad3f, v59
	v_add_f32_e32 v67, v67, v71
	v_mul_f32_e32 v71, 0xbf29c268, v125
	v_fmac_f32_e32 v58, 0xbf788fa5, v123
	v_add_f32_e32 v64, v64, v69
	v_add_f32_e32 v66, v66, v70
	v_mul_f32_e32 v70, 0xbf29c268, v126
	v_mov_b32_e32 v69, v71
	v_fma_f32 v71, v123, s12, -v71
	v_add_f32_e32 v57, v57, v68
	v_add_f32_e32 v58, v58, v74
	v_fma_f32 v68, v59, s12, -v70
	v_fmac_f32_e32 v70, 0xbf3f9e67, v59
	v_add_f32_e32 v71, v71, v75
	v_mul_f32_e32 v74, 0x3f52af12, v126
	v_mul_f32_e32 v75, 0x3f52af12, v125
	v_add_f32_e32 v68, v68, v72
	v_add_f32_e32 v70, v70, v73
	v_fma_f32 v72, v59, s3, -v74
	v_mov_b32_e32 v73, v75
	v_fmac_f32_e32 v74, 0x3f116cb1, v59
	v_fma_f32 v75, v123, s3, -v75
	v_fmac_f32_e32 v65, 0x3f62ad3f, v123
	v_add_f32_e32 v74, v74, v114
	v_add_f32_e32 v75, v75, v115
	v_mul_f32_e32 v114, 0xbf6f5d39, v126
	v_mul_f32_e32 v115, 0xbf6f5d39, v125
	v_add_f32_e32 v65, v65, v113
	v_add_f32_e32 v72, v72, v112
	v_fma_f32 v112, v59, s5, -v114
	v_mov_b32_e32 v113, v115
	v_fmac_f32_e32 v114, 0xbeb58ec6, v59
	v_fma_f32 v115, v123, s5, -v115
	v_fmac_f32_e32 v69, 0xbf3f9e67, v123
	v_add_f32_e32 v114, v114, v118
	v_add_f32_e32 v115, v115, v119
	v_mul_f32_e32 v118, 0x3f7e222b, v126
	v_mul_f32_e32 v119, 0x3f7e222b, v125
	v_add_f32_e32 v69, v69, v117
	v_add_f32_e32 v112, v112, v116
	v_fma_f32 v116, v59, s2, -v118
	v_mov_b32_e32 v117, v119
	v_fmac_f32_e32 v118, 0x3df6dbef, v59
	v_fmac_f32_e32 v73, 0x3f116cb1, v123
	;; [unrolled: 1-line block ×4, first 2 shown]
	v_add_f32_e32 v118, v118, v55
	v_fma_f32 v55, v123, s2, -v119
	v_add_f32_e32 v73, v73, v121
	v_add_f32_e32 v113, v113, v124
	;; [unrolled: 1-line block ×5, first 2 shown]
	ds_write2_b64 v106, v[52:53], v[57:58] offset1:65
	ds_write2_b64 v106, v[64:65], v[68:69] offset0:130 offset1:195
	ds_write2_b64 v61, v[72:73], v[112:113] offset0:4 offset1:69
	;; [unrolled: 1-line block ×5, first 2 shown]
	ds_write_b64 v106, v[62:63] offset:6240
	v_add_co_u32_e64 v52, s[0:1], s14, v54
	v_addc_co_u32_e64 v53, s[0:1], 0, v28, s[0:1]
	s_waitcnt lgkmcnt(0)
	s_barrier
	global_load_dwordx2 v[57:58], v[52:53], off offset:2664
	v_add_co_u32_e64 v52, s[0:1], s15, v54
	v_addc_co_u32_e64 v53, s[0:1], 0, v28, s[0:1]
	global_load_dwordx2 v[66:67], v[52:53], off offset:520
	global_load_dwordx2 v[68:69], v[52:53], off offset:1040
	;; [unrolled: 1-line block ×7, first 2 shown]
	s_movk_i32 s0, 0x2000
	v_add_co_u32_e64 v52, s[0:1], s0, v54
	v_addc_co_u32_e64 v53, s[0:1], 0, v28, s[0:1]
	global_load_dwordx2 v[116:117], v[52:53], off offset:2728
	global_load_dwordx2 v[118:119], v[52:53], off offset:3248
	;; [unrolled: 1-line block ×3, first 2 shown]
	s_movk_i32 s0, 0x3000
	v_add_co_u32_e64 v52, s[0:1], s0, v54
	v_addc_co_u32_e64 v53, s[0:1], 0, v28, s[0:1]
	global_load_dwordx2 v[28:29], v[52:53], off offset:192
	global_load_dwordx2 v[122:123], v[52:53], off offset:712
	ds_read2_b64 v[52:55], v106 offset1:65
	ds_read2_b64 v[62:65], v106 offset0:130 offset1:195
	s_waitcnt vmcnt(12) lgkmcnt(1)
	v_mul_f32_e32 v59, v53, v58
	v_mul_f32_e32 v125, v52, v58
	v_fma_f32 v124, v52, v57, -v59
	v_fmac_f32_e32 v125, v53, v57
	s_waitcnt vmcnt(11)
	v_mul_f32_e32 v52, v55, v67
	v_mul_f32_e32 v53, v54, v67
	v_fma_f32 v52, v54, v66, -v52
	v_fmac_f32_e32 v53, v55, v66
	ds_write2_b64 v106, v[124:125], v[52:53] offset1:65
	s_waitcnt vmcnt(10) lgkmcnt(1)
	v_mul_f32_e32 v52, v63, v69
	v_fma_f32 v57, v62, v68, -v52
	v_mul_f32_e32 v58, v62, v69
	ds_read2_b64 v[52:55], v61 offset0:4 offset1:69
	v_fmac_f32_e32 v58, v63, v68
	s_waitcnt vmcnt(9)
	v_mul_f32_e32 v59, v65, v71
	v_mul_f32_e32 v63, v64, v71
	v_fma_f32 v62, v64, v70, -v59
	v_fmac_f32_e32 v63, v65, v70
	ds_write2_b64 v106, v[57:58], v[62:63] offset0:130 offset1:195
	ds_read2_b64 v[62:65], v61 offset0:134 offset1:199
	s_waitcnt vmcnt(8) lgkmcnt(2)
	v_mul_f32_e32 v57, v53, v73
	v_mul_f32_e32 v58, v52, v73
	v_fma_f32 v57, v52, v72, -v57
	v_fmac_f32_e32 v58, v53, v72
	s_waitcnt vmcnt(7)
	v_mul_f32_e32 v52, v55, v75
	v_mul_f32_e32 v53, v54, v75
	v_fma_f32 v52, v54, v74, -v52
	v_fmac_f32_e32 v53, v55, v74
	ds_write2_b64 v61, v[57:58], v[52:53] offset0:4 offset1:69
	s_waitcnt vmcnt(6) lgkmcnt(1)
	v_mul_f32_e32 v52, v63, v113
	v_fma_f32 v57, v62, v112, -v52
	ds_read2_b64 v[52:55], v60 offset0:8 offset1:73
	v_mul_f32_e32 v58, v62, v113
	v_fmac_f32_e32 v58, v63, v112
	s_waitcnt vmcnt(5)
	v_mul_f32_e32 v59, v65, v115
	v_mul_f32_e32 v63, v64, v115
	v_fma_f32 v62, v64, v114, -v59
	v_fmac_f32_e32 v63, v65, v114
	ds_write2_b64 v61, v[57:58], v[62:63] offset0:134 offset1:199
	s_waitcnt vmcnt(4) lgkmcnt(1)
	v_mul_f32_e32 v57, v53, v117
	v_mul_f32_e32 v58, v52, v117
	v_fma_f32 v57, v52, v116, -v57
	v_fmac_f32_e32 v58, v53, v116
	s_waitcnt vmcnt(3)
	v_mul_f32_e32 v52, v55, v119
	ds_read2_b64 v[62:65], v60 offset0:138 offset1:203
	v_mul_f32_e32 v53, v54, v119
	v_fma_f32 v52, v54, v118, -v52
	v_fmac_f32_e32 v53, v55, v118
	ds_read_b64 v[54:55], v106 offset:6240
	ds_write2_b64 v60, v[57:58], v[52:53] offset0:8 offset1:73
	s_waitcnt vmcnt(1) lgkmcnt(2)
	v_mul_f32_e32 v57, v65, v29
	v_mul_f32_e32 v58, v64, v29
	;; [unrolled: 1-line block ×4, first 2 shown]
	v_fma_f32 v57, v64, v28, -v57
	v_fmac_f32_e32 v58, v65, v28
	s_waitcnt vmcnt(0) lgkmcnt(1)
	v_mul_f32_e32 v28, v55, v123
	v_mul_f32_e32 v29, v54, v123
	v_fma_f32 v52, v62, v120, -v52
	v_fmac_f32_e32 v53, v63, v120
	v_fma_f32 v28, v54, v122, -v28
	v_fmac_f32_e32 v29, v55, v122
	ds_write2_b64 v60, v[52:53], v[57:58] offset0:138 offset1:203
	ds_write_b64 v106, v[28:29] offset:6240
	s_waitcnt lgkmcnt(0)
	s_barrier
	ds_read2_b64 v[52:55], v106 offset1:65
	ds_read2_b64 v[62:65], v106 offset0:130 offset1:195
	ds_read2_b64 v[66:69], v61 offset0:4 offset1:69
	;; [unrolled: 1-line block ×5, first 2 shown]
	ds_read_b64 v[28:29], v106 offset:6240
	s_waitcnt lgkmcnt(6)
	v_add_f32_e32 v58, v53, v55
	v_add_f32_e32 v57, v52, v54
	s_waitcnt lgkmcnt(5)
	v_add_f32_e32 v58, v58, v63
	v_add_f32_e32 v57, v57, v62
	v_add_f32_e32 v58, v58, v65
	v_add_f32_e32 v57, v57, v64
	s_waitcnt lgkmcnt(4)
	v_add_f32_e32 v58, v58, v67
	v_add_f32_e32 v57, v57, v66
	;; [unrolled: 5-line block ×6, first 2 shown]
	v_sub_f32_e32 v29, v55, v29
	v_add_f32_e32 v57, v57, v28
	v_add_f32_e32 v59, v28, v54
	v_sub_f32_e32 v28, v54, v28
	v_mul_f32_e32 v54, 0xbeedf032, v29
	v_mul_f32_e32 v121, 0xbf52af12, v29
	;; [unrolled: 1-line block ×6, first 2 shown]
	v_mov_b32_e32 v55, v54
	v_mul_f32_e32 v75, 0x3f62ad3f, v74
	v_mov_b32_e32 v122, v121
	v_mul_f32_e32 v123, 0x3f116cb1, v74
	;; [unrolled: 2-line block ×6, first 2 shown]
	v_fmac_f32_e32 v55, 0x3f62ad3f, v59
	v_mov_b32_e32 v120, v75
	v_fma_f32 v54, v59, s4, -v54
	v_fmac_f32_e32 v122, 0x3f116cb1, v59
	v_mov_b32_e32 v124, v123
	v_fma_f32 v121, v59, s3, -v121
	;; [unrolled: 3-line block ×6, first 2 shown]
	v_add_f32_e32 v55, v52, v55
	v_fmac_f32_e32 v120, 0x3eedf032, v28
	v_add_f32_e32 v54, v52, v54
	v_fmac_f32_e32 v75, 0xbeedf032, v28
	;; [unrolled: 2-line block ×12, first 2 shown]
	v_add_f32_e32 v52, v118, v62
	v_sub_f32_e32 v59, v62, v118
	v_sub_f32_e32 v62, v63, v119
	v_add_f32_e32 v120, v53, v120
	v_add_f32_e32 v75, v53, v75
	;; [unrolled: 1-line block ×13, first 2 shown]
	v_mul_f32_e32 v63, 0xbf52af12, v62
	v_mov_b32_e32 v74, v63
	v_fmac_f32_e32 v74, 0x3f116cb1, v52
	v_add_f32_e32 v55, v74, v55
	v_mul_f32_e32 v74, 0x3f116cb1, v53
	v_mov_b32_e32 v118, v74
	v_fma_f32 v63, v52, s3, -v63
	v_fmac_f32_e32 v74, 0xbf52af12, v59
	v_add_f32_e32 v54, v63, v54
	v_add_f32_e32 v63, v74, v75
	v_mul_f32_e32 v74, 0xbf6f5d39, v62
	v_mov_b32_e32 v75, v74
	v_fma_f32 v74, v52, s5, -v74
	v_fmac_f32_e32 v118, 0x3f52af12, v59
	v_fmac_f32_e32 v75, 0xbeb58ec6, v52
	v_mul_f32_e32 v119, 0xbeb58ec6, v53
	v_add_f32_e32 v74, v74, v121
	v_mul_f32_e32 v121, 0xbe750f2a, v62
	v_add_f32_e32 v118, v118, v120
	v_add_f32_e32 v75, v75, v122
	v_mov_b32_e32 v120, v119
	v_fmac_f32_e32 v119, 0xbf6f5d39, v59
	v_mov_b32_e32 v122, v121
	v_fma_f32 v121, v52, s13, -v121
	v_fmac_f32_e32 v120, 0x3f6f5d39, v59
	v_add_f32_e32 v119, v119, v123
	v_fmac_f32_e32 v122, 0xbf788fa5, v52
	v_mul_f32_e32 v123, 0xbf788fa5, v53
	v_add_f32_e32 v121, v121, v125
	v_mul_f32_e32 v125, 0x3f29c268, v62
	v_add_f32_e32 v120, v120, v124
	v_add_f32_e32 v122, v122, v126
	v_mov_b32_e32 v124, v123
	v_fmac_f32_e32 v123, 0xbe750f2a, v59
	v_mov_b32_e32 v126, v125
	v_fma_f32 v125, v52, s12, -v125
	v_fmac_f32_e32 v124, 0x3e750f2a, v59
	v_add_f32_e32 v123, v123, v127
	v_fmac_f32_e32 v126, 0xbf3f9e67, v52
	v_mul_f32_e32 v127, 0xbf3f9e67, v53
	v_add_f32_e32 v125, v125, v129
	v_mul_f32_e32 v129, 0x3f7e222b, v62
	v_add_f32_e32 v124, v124, v128
	v_add_f32_e32 v126, v126, v130
	v_mov_b32_e32 v128, v127
	v_fmac_f32_e32 v127, 0x3f29c268, v59
	v_mov_b32_e32 v130, v129
	v_fma_f32 v129, v52, s2, -v129
	v_mul_f32_e32 v62, 0x3eedf032, v62
	v_fmac_f32_e32 v128, 0xbf29c268, v59
	v_add_f32_e32 v127, v127, v131
	v_fmac_f32_e32 v130, 0x3df6dbef, v52
	v_mul_f32_e32 v131, 0x3df6dbef, v53
	v_add_f32_e32 v129, v129, v133
	v_mov_b32_e32 v133, v62
	v_mul_f32_e32 v53, 0x3f62ad3f, v53
	v_add_f32_e32 v128, v128, v132
	v_add_f32_e32 v130, v130, v134
	v_mov_b32_e32 v132, v131
	v_fmac_f32_e32 v133, 0x3f62ad3f, v52
	v_mov_b32_e32 v134, v53
	v_fma_f32 v52, v52, s4, -v62
	v_sub_f32_e32 v62, v65, v117
	v_fmac_f32_e32 v132, 0xbf7e222b, v59
	v_fmac_f32_e32 v131, 0x3f7e222b, v59
	;; [unrolled: 1-line block ×3, first 2 shown]
	v_add_f32_e32 v29, v52, v29
	v_fmac_f32_e32 v53, 0x3eedf032, v59
	v_add_f32_e32 v52, v116, v64
	v_sub_f32_e32 v59, v64, v116
	v_mul_f32_e32 v64, 0xbf7e222b, v62
	v_add_f32_e32 v28, v53, v28
	v_add_f32_e32 v53, v117, v65
	v_mov_b32_e32 v65, v64
	v_fmac_f32_e32 v65, 0x3df6dbef, v52
	v_add_f32_e32 v55, v65, v55
	v_mul_f32_e32 v65, 0x3df6dbef, v53
	v_fma_f32 v64, v52, s2, -v64
	v_mov_b32_e32 v116, v65
	v_add_f32_e32 v54, v64, v54
	v_fmac_f32_e32 v65, 0xbf7e222b, v59
	v_mul_f32_e32 v64, 0xbe750f2a, v62
	v_add_f32_e32 v63, v65, v63
	v_mov_b32_e32 v65, v64
	v_fmac_f32_e32 v65, 0xbf788fa5, v52
	v_add_f32_e32 v65, v65, v75
	v_mul_f32_e32 v75, 0xbf788fa5, v53
	v_mov_b32_e32 v117, v75
	v_fma_f32 v64, v52, s13, -v64
	v_fmac_f32_e32 v75, 0xbe750f2a, v59
	v_fmac_f32_e32 v116, 0x3f7e222b, v59
	v_add_f32_e32 v64, v64, v74
	v_add_f32_e32 v74, v75, v119
	v_mul_f32_e32 v75, 0x3f6f5d39, v62
	v_add_f32_e32 v116, v116, v118
	v_mov_b32_e32 v118, v75
	v_fma_f32 v75, v52, s5, -v75
	v_fmac_f32_e32 v117, 0x3e750f2a, v59
	v_fmac_f32_e32 v118, 0xbeb58ec6, v52
	v_mul_f32_e32 v119, 0xbeb58ec6, v53
	v_add_f32_e32 v75, v75, v121
	v_mul_f32_e32 v121, 0x3eedf032, v62
	v_add_f32_e32 v117, v117, v120
	v_add_f32_e32 v118, v118, v122
	v_mov_b32_e32 v120, v119
	v_fmac_f32_e32 v119, 0x3f6f5d39, v59
	v_mov_b32_e32 v122, v121
	v_fma_f32 v121, v52, s4, -v121
	v_fmac_f32_e32 v120, 0xbf6f5d39, v59
	v_add_f32_e32 v119, v119, v123
	v_fmac_f32_e32 v122, 0x3f62ad3f, v52
	v_mul_f32_e32 v123, 0x3f62ad3f, v53
	v_add_f32_e32 v121, v121, v125
	v_mul_f32_e32 v125, 0xbf52af12, v62
	v_add_f32_e32 v120, v120, v124
	v_add_f32_e32 v122, v122, v126
	v_mov_b32_e32 v124, v123
	v_fmac_f32_e32 v123, 0x3eedf032, v59
	v_mov_b32_e32 v126, v125
	v_fma_f32 v125, v52, s3, -v125
	v_mul_f32_e32 v62, 0xbf29c268, v62
	v_fmac_f32_e32 v124, 0xbeedf032, v59
	v_add_f32_e32 v123, v123, v127
	v_fmac_f32_e32 v126, 0x3f116cb1, v52
	v_mul_f32_e32 v127, 0x3f116cb1, v53
	v_add_f32_e32 v125, v125, v129
	v_mov_b32_e32 v129, v62
	v_mul_f32_e32 v53, 0xbf3f9e67, v53
	v_add_f32_e32 v124, v124, v128
	v_add_f32_e32 v126, v126, v130
	v_mov_b32_e32 v128, v127
	v_fmac_f32_e32 v129, 0xbf3f9e67, v52
	v_mov_b32_e32 v130, v53
	v_fma_f32 v52, v52, s12, -v62
	v_sub_f32_e32 v62, v67, v115
	v_fmac_f32_e32 v128, 0x3f52af12, v59
	v_fmac_f32_e32 v127, 0xbf52af12, v59
	;; [unrolled: 1-line block ×3, first 2 shown]
	v_add_f32_e32 v29, v52, v29
	v_fmac_f32_e32 v53, 0xbf29c268, v59
	v_add_f32_e32 v52, v114, v66
	v_sub_f32_e32 v59, v66, v114
	v_mul_f32_e32 v66, 0xbf6f5d39, v62
	v_add_f32_e32 v28, v53, v28
	v_add_f32_e32 v53, v115, v67
	v_mov_b32_e32 v67, v66
	v_fmac_f32_e32 v67, 0xbeb58ec6, v52
	v_add_f32_e32 v55, v67, v55
	v_mul_f32_e32 v67, 0xbeb58ec6, v53
	v_fma_f32 v66, v52, s5, -v66
	v_mov_b32_e32 v114, v67
	v_add_f32_e32 v54, v66, v54
	v_fmac_f32_e32 v67, 0xbf6f5d39, v59
	v_mul_f32_e32 v66, 0x3f29c268, v62
	v_add_f32_e32 v63, v67, v63
	v_mov_b32_e32 v67, v66
	v_fmac_f32_e32 v67, 0xbf3f9e67, v52
	v_add_f32_e32 v65, v67, v65
	v_mul_f32_e32 v67, 0xbf3f9e67, v53
	v_fmac_f32_e32 v114, 0x3f6f5d39, v59
	v_mov_b32_e32 v115, v67
	v_fma_f32 v66, v52, s12, -v66
	v_fmac_f32_e32 v67, 0x3f29c268, v59
	v_add_f32_e32 v114, v114, v116
	v_fmac_f32_e32 v115, 0xbf29c268, v59
	v_add_f32_e32 v64, v66, v64
	v_add_f32_e32 v66, v67, v74
	v_mul_f32_e32 v67, 0x3eedf032, v62
	v_mul_f32_e32 v116, 0x3f62ad3f, v53
	v_add_f32_e32 v115, v115, v117
	v_mov_b32_e32 v74, v67
	v_mov_b32_e32 v117, v116
	v_fma_f32 v67, v52, s4, -v67
	v_fmac_f32_e32 v116, 0x3eedf032, v59
	v_fmac_f32_e32 v74, 0x3f62ad3f, v52
	v_add_f32_e32 v67, v67, v75
	v_add_f32_e32 v75, v116, v119
	v_mul_f32_e32 v116, 0xbf7e222b, v62
	v_add_f32_e32 v74, v74, v118
	v_mov_b32_e32 v118, v116
	v_fma_f32 v116, v52, s2, -v116
	v_fmac_f32_e32 v117, 0xbeedf032, v59
	v_fmac_f32_e32 v118, 0x3df6dbef, v52
	v_mul_f32_e32 v119, 0x3df6dbef, v53
	v_add_f32_e32 v116, v116, v121
	v_mul_f32_e32 v121, 0x3e750f2a, v62
	v_add_f32_e32 v117, v117, v120
	v_add_f32_e32 v118, v118, v122
	v_mov_b32_e32 v120, v119
	v_fmac_f32_e32 v119, 0xbf7e222b, v59
	v_mov_b32_e32 v122, v121
	v_fma_f32 v121, v52, s13, -v121
	v_mul_f32_e32 v62, 0x3f52af12, v62
	v_fmac_f32_e32 v120, 0x3f7e222b, v59
	v_add_f32_e32 v119, v119, v123
	v_fmac_f32_e32 v122, 0xbf788fa5, v52
	v_mul_f32_e32 v123, 0xbf788fa5, v53
	v_add_f32_e32 v121, v121, v125
	v_mov_b32_e32 v125, v62
	v_mul_f32_e32 v53, 0x3f116cb1, v53
	v_add_f32_e32 v120, v120, v124
	v_add_f32_e32 v122, v122, v126
	v_mov_b32_e32 v124, v123
	v_fmac_f32_e32 v125, 0x3f116cb1, v52
	v_mov_b32_e32 v126, v53
	v_fma_f32 v52, v52, s3, -v62
	v_sub_f32_e32 v62, v69, v113
	v_fmac_f32_e32 v124, 0xbe750f2a, v59
	v_fmac_f32_e32 v123, 0x3e750f2a, v59
	;; [unrolled: 1-line block ×3, first 2 shown]
	v_add_f32_e32 v29, v52, v29
	v_fmac_f32_e32 v53, 0x3f52af12, v59
	v_add_f32_e32 v52, v112, v68
	v_sub_f32_e32 v59, v68, v112
	v_mul_f32_e32 v68, 0xbf29c268, v62
	v_add_f32_e32 v28, v53, v28
	v_add_f32_e32 v53, v113, v69
	v_mov_b32_e32 v69, v68
	v_fmac_f32_e32 v69, 0xbf3f9e67, v52
	v_add_f32_e32 v55, v69, v55
	v_mul_f32_e32 v69, 0xbf3f9e67, v53
	v_mov_b32_e32 v112, v69
	v_fma_f32 v68, v52, s12, -v68
	v_fmac_f32_e32 v69, 0xbf29c268, v59
	v_add_f32_e32 v54, v68, v54
	v_add_f32_e32 v68, v69, v63
	v_mul_f32_e32 v63, 0x3f7e222b, v62
	v_fmac_f32_e32 v112, 0x3f29c268, v59
	v_mov_b32_e32 v69, v63
	v_fma_f32 v63, v52, s2, -v63
	v_add_f32_e32 v112, v112, v114
	v_fmac_f32_e32 v69, 0x3df6dbef, v52
	v_add_f32_e32 v114, v63, v64
	v_mul_f32_e32 v63, 0xbf52af12, v62
	v_add_f32_e32 v65, v69, v65
	v_mul_f32_e32 v69, 0x3df6dbef, v53
	v_mov_b32_e32 v64, v63
	v_mov_b32_e32 v113, v69
	v_fmac_f32_e32 v69, 0x3f7e222b, v59
	v_fmac_f32_e32 v64, 0x3f116cb1, v52
	;; [unrolled: 1-line block ×3, first 2 shown]
	v_add_f32_e32 v66, v69, v66
	v_add_f32_e32 v69, v64, v74
	v_mul_f32_e32 v64, 0x3f116cb1, v53
	v_fma_f32 v63, v52, s3, -v63
	v_add_f32_e32 v113, v113, v115
	v_mov_b32_e32 v74, v64
	v_add_f32_e32 v115, v63, v67
	v_fmac_f32_e32 v64, 0xbf52af12, v59
	v_mul_f32_e32 v63, 0x3e750f2a, v62
	v_add_f32_e32 v75, v64, v75
	v_mov_b32_e32 v64, v63
	v_fmac_f32_e32 v74, 0x3f52af12, v59
	v_fmac_f32_e32 v64, 0xbf788fa5, v52
	v_add_f32_e32 v74, v74, v117
	v_add_f32_e32 v117, v64, v118
	v_mul_f32_e32 v64, 0xbf788fa5, v53
	v_fma_f32 v63, v52, s13, -v63
	v_mov_b32_e32 v67, v64
	v_add_f32_e32 v116, v63, v116
	v_fmac_f32_e32 v64, 0x3e750f2a, v59
	v_mul_f32_e32 v63, 0x3eedf032, v62
	v_add_f32_e32 v119, v64, v119
	v_mov_b32_e32 v64, v63
	v_fmac_f32_e32 v67, 0xbe750f2a, v59
	v_fmac_f32_e32 v64, 0x3f62ad3f, v52
	v_add_f32_e32 v132, v132, v136
	v_add_f32_e32 v133, v133, v137
	v_add_f32_e32 v118, v67, v120
	v_add_f32_e32 v120, v64, v122
	v_mul_f32_e32 v64, 0x3f62ad3f, v53
	v_fma_f32 v63, v52, s4, -v63
	v_mul_f32_e32 v62, 0xbf6f5d39, v62
	v_add_f32_e32 v134, v134, v138
	v_add_f32_e32 v128, v128, v132
	;; [unrolled: 1-line block ×3, first 2 shown]
	v_mov_b32_e32 v67, v64
	v_add_f32_e32 v121, v63, v121
	v_mov_b32_e32 v63, v62
	v_add_f32_e32 v130, v130, v134
	v_add_f32_e32 v124, v124, v128
	;; [unrolled: 1-line block ×3, first 2 shown]
	v_fmac_f32_e32 v67, 0xbeedf032, v59
	v_fmac_f32_e32 v63, 0xbeb58ec6, v52
	v_mul_f32_e32 v53, 0xbeb58ec6, v53
	v_add_f32_e32 v131, v131, v135
	v_add_f32_e32 v126, v126, v130
	;; [unrolled: 1-line block ×4, first 2 shown]
	v_mov_b32_e32 v63, v53
	v_fmac_f32_e32 v53, 0xbf6f5d39, v59
	v_sub_f32_e32 v130, v71, v73
	v_add_f32_e32 v127, v127, v131
	v_fmac_f32_e32 v64, 0x3eedf032, v59
	v_fmac_f32_e32 v63, 0x3f6f5d39, v59
	v_fma_f32 v52, v52, s5, -v62
	v_add_f32_e32 v59, v53, v28
	v_mul_f32_e32 v28, 0xbe750f2a, v130
	v_add_f32_e32 v123, v123, v127
	v_add_f32_e32 v125, v63, v126
	;; [unrolled: 1-line block ×4, first 2 shown]
	v_mov_b32_e32 v29, v28
	v_add_f32_e32 v128, v73, v71
	v_fmac_f32_e32 v29, 0xbf788fa5, v127
	v_add_f32_e32 v62, v29, v55
	v_mul_f32_e32 v29, 0xbf788fa5, v128
	v_sub_f32_e32 v129, v70, v72
	v_mov_b32_e32 v52, v29
	v_fmac_f32_e32 v52, 0x3e750f2a, v129
	v_add_f32_e32 v63, v52, v112
	v_mul_f32_e32 v52, 0x3eedf032, v130
	v_mov_b32_e32 v53, v52
	v_fmac_f32_e32 v53, 0x3f62ad3f, v127
	v_add_f32_e32 v123, v64, v123
	v_fma_f32 v28, v127, s13, -v28
	v_add_f32_e32 v64, v53, v65
	v_mul_f32_e32 v53, 0x3f62ad3f, v128
	v_add_f32_e32 v28, v28, v54
	v_mov_b32_e32 v54, v53
	v_fmac_f32_e32 v54, 0xbeedf032, v129
	v_fma_f32 v52, v127, s4, -v52
	v_add_f32_e32 v65, v54, v113
	v_add_f32_e32 v54, v52, v114
	v_fmac_f32_e32 v53, 0x3eedf032, v129
	v_mul_f32_e32 v52, 0xbf29c268, v130
	v_add_f32_e32 v55, v53, v66
	v_mov_b32_e32 v53, v52
	v_fmac_f32_e32 v53, 0xbf3f9e67, v127
	v_add_f32_e32 v66, v53, v69
	v_mul_f32_e32 v53, 0xbf3f9e67, v128
	v_mov_b32_e32 v67, v53
	v_fmac_f32_e32 v67, 0x3f29c268, v129
	v_fmac_f32_e32 v53, 0xbf29c268, v129
	;; [unrolled: 1-line block ×3, first 2 shown]
	v_add_f32_e32 v67, v67, v74
	v_fma_f32 v52, v127, s12, -v52
	v_add_f32_e32 v53, v53, v75
	v_mul_f32_e32 v70, 0x3f52af12, v130
	v_mul_f32_e32 v71, 0x3f116cb1, v128
	;; [unrolled: 1-line block ×5, first 2 shown]
	v_add_f32_e32 v29, v29, v68
	v_add_f32_e32 v52, v52, v115
	v_mov_b32_e32 v68, v70
	v_mov_b32_e32 v69, v71
	;; [unrolled: 1-line block ×5, first 2 shown]
	v_mul_f32_e32 v115, 0x3df6dbef, v128
	v_fmac_f32_e32 v68, 0x3f116cb1, v127
	v_fmac_f32_e32 v69, 0xbf52af12, v129
	v_fma_f32 v70, v127, s3, -v70
	v_fmac_f32_e32 v71, 0x3f52af12, v129
	v_fmac_f32_e32 v72, 0xbeb58ec6, v127
	;; [unrolled: 1-line block ×3, first 2 shown]
	v_fma_f32 v74, v127, s5, -v74
	v_fmac_f32_e32 v75, 0xbf6f5d39, v129
	v_fmac_f32_e32 v112, 0x3df6dbef, v127
	v_mov_b32_e32 v113, v115
	v_add_f32_e32 v68, v68, v117
	v_add_f32_e32 v69, v69, v118
	;; [unrolled: 1-line block ×9, first 2 shown]
	v_fmac_f32_e32 v113, 0xbf7e222b, v129
	v_fma_f32 v114, v127, s2, -v114
	v_fmac_f32_e32 v115, 0x3f7e222b, v129
	v_add_f32_e32 v113, v113, v125
	v_add_f32_e32 v114, v114, v126
	;; [unrolled: 1-line block ×3, first 2 shown]
	s_barrier
	ds_write2_b64 v56, v[57:58], v[62:63] offset1:1
	ds_write2_b64 v56, v[64:65], v[66:67] offset0:2 offset1:3
	ds_write2_b64 v56, v[68:69], v[72:73] offset0:4 offset1:5
	;; [unrolled: 1-line block ×5, first 2 shown]
	ds_write_b64 v56, v[28:29] offset:96
	s_waitcnt lgkmcnt(0)
	s_barrier
	ds_read2_b64 v[56:59], v106 offset1:65
	ds_read2_b64 v[72:75], v106 offset0:169 offset1:234
	ds_read2_b64 v[68:71], v61 offset0:82 offset1:147
	v_add_u32_e32 v112, 0xc00, v106
	ds_read2_b64 v[64:67], v112 offset0:123 offset1:188
	ds_read2_b64 v[60:63], v60 offset0:164 offset1:229
	s_and_saveexec_b64 s[0:1], vcc
	s_cbranch_execz .LBB0_7
; %bb.6:
	v_add_u32_e32 v28, 0x400, v106
	ds_read2_b64 v[52:55], v28 offset0:2 offset1:171
	ds_read2_b64 v[28:31], v112 offset0:84 offset1:253
	ds_read_b64 v[103:104], v106 offset:6448
.LBB0_7:
	s_or_b64 exec, exec, s[0:1]
	s_waitcnt lgkmcnt(3)
	v_mul_f32_e32 v112, v13, v73
	v_mul_f32_e32 v13, v13, v72
	v_fmac_f32_e32 v112, v12, v72
	v_fma_f32 v72, v12, v73, -v13
	s_waitcnt lgkmcnt(2)
	v_mul_f32_e32 v73, v15, v69
	v_mul_f32_e32 v12, v15, v68
	s_waitcnt lgkmcnt(1)
	v_mul_f32_e32 v15, v9, v65
	v_mul_f32_e32 v9, v9, v64
	v_fmac_f32_e32 v73, v14, v68
	v_fmac_f32_e32 v15, v8, v64
	v_fma_f32 v64, v8, v65, -v9
	s_waitcnt lgkmcnt(0)
	v_mul_f32_e32 v13, v11, v61
	v_mul_f32_e32 v8, v11, v60
	v_fmac_f32_e32 v13, v10, v60
	v_fma_f32 v60, v10, v61, -v8
	v_mul_f32_e32 v8, v21, v74
	v_add_f32_e32 v9, v73, v15
	v_fma_f32 v68, v14, v69, -v12
	v_fma_f32 v65, v20, v75, -v8
	v_mul_f32_e32 v69, v23, v71
	v_mul_f32_e32 v8, v23, v70
	v_fma_f32 v10, -0.5, v9, v56
	v_fmac_f32_e32 v69, v22, v70
	v_fma_f32 v70, v22, v71, -v8
	v_mul_f32_e32 v71, v17, v67
	v_mul_f32_e32 v8, v17, v66
	v_sub_f32_e32 v9, v72, v60
	v_mov_b32_e32 v12, v10
	v_fmac_f32_e32 v71, v16, v66
	v_fma_f32 v66, v16, v67, -v8
	v_fmac_f32_e32 v12, 0xbf737871, v9
	v_sub_f32_e32 v11, v68, v64
	v_sub_f32_e32 v14, v112, v73
	v_sub_f32_e32 v16, v13, v15
	v_fmac_f32_e32 v10, 0x3f737871, v9
	v_fmac_f32_e32 v12, 0xbf167918, v11
	v_add_f32_e32 v14, v14, v16
	v_fmac_f32_e32 v10, 0x3f167918, v11
	v_fmac_f32_e32 v12, 0x3e9e377a, v14
	;; [unrolled: 1-line block ×3, first 2 shown]
	v_add_f32_e32 v14, v112, v13
	v_mul_f32_e32 v23, v19, v63
	v_mul_f32_e32 v8, v19, v62
	v_fma_f32 v14, -0.5, v14, v56
	v_fmac_f32_e32 v23, v18, v62
	v_fma_f32 v62, v18, v63, -v8
	v_add_f32_e32 v8, v56, v112
	v_mov_b32_e32 v16, v14
	v_add_f32_e32 v8, v8, v73
	v_fmac_f32_e32 v16, 0x3f737871, v11
	v_fmac_f32_e32 v14, 0xbf737871, v11
	v_add_f32_e32 v11, v68, v64
	v_add_f32_e32 v8, v8, v15
	v_sub_f32_e32 v17, v73, v112
	v_sub_f32_e32 v18, v15, v13
	v_fma_f32 v11, -0.5, v11, v57
	v_add_f32_e32 v8, v8, v13
	v_fmac_f32_e32 v16, 0xbf167918, v9
	v_add_f32_e32 v17, v17, v18
	v_fmac_f32_e32 v14, 0x3f167918, v9
	v_sub_f32_e32 v18, v112, v13
	v_mov_b32_e32 v13, v11
	v_fmac_f32_e32 v16, 0x3e9e377a, v17
	v_fmac_f32_e32 v14, 0x3e9e377a, v17
	;; [unrolled: 1-line block ×3, first 2 shown]
	v_sub_f32_e32 v19, v73, v15
	v_sub_f32_e32 v15, v72, v68
	;; [unrolled: 1-line block ×3, first 2 shown]
	v_fmac_f32_e32 v11, 0xbf737871, v18
	v_fmac_f32_e32 v13, 0x3f167918, v19
	v_add_f32_e32 v15, v15, v17
	v_fmac_f32_e32 v11, 0xbf167918, v19
	v_fmac_f32_e32 v13, 0x3e9e377a, v15
	;; [unrolled: 1-line block ×3, first 2 shown]
	v_add_f32_e32 v15, v72, v60
	v_fma_f32 v15, -0.5, v15, v57
	v_mul_f32_e32 v61, v21, v75
	v_mov_b32_e32 v17, v15
	v_fmac_f32_e32 v61, v20, v74
	v_fmac_f32_e32 v17, 0xbf737871, v19
	v_sub_f32_e32 v20, v68, v72
	v_sub_f32_e32 v21, v64, v60
	v_fmac_f32_e32 v15, 0x3f737871, v19
	v_fmac_f32_e32 v17, 0x3f167918, v18
	v_add_f32_e32 v20, v20, v21
	v_fmac_f32_e32 v15, 0xbf167918, v18
	v_add_f32_e32 v19, v69, v71
	v_fmac_f32_e32 v17, 0x3e9e377a, v20
	v_fmac_f32_e32 v15, 0x3e9e377a, v20
	v_fma_f32 v20, -0.5, v19, v58
	v_sub_f32_e32 v19, v65, v62
	v_mov_b32_e32 v22, v20
	v_add_f32_e32 v9, v57, v72
	v_fmac_f32_e32 v22, 0xbf737871, v19
	v_sub_f32_e32 v21, v70, v66
	v_sub_f32_e32 v56, v61, v69
	;; [unrolled: 1-line block ×3, first 2 shown]
	v_fmac_f32_e32 v20, 0x3f737871, v19
	v_fmac_f32_e32 v22, 0xbf167918, v21
	v_add_f32_e32 v56, v56, v57
	v_fmac_f32_e32 v20, 0x3f167918, v21
	v_fmac_f32_e32 v22, 0x3e9e377a, v56
	;; [unrolled: 1-line block ×3, first 2 shown]
	v_add_f32_e32 v56, v61, v23
	v_add_f32_e32 v18, v58, v61
	v_fma_f32 v58, -0.5, v56, v58
	v_add_f32_e32 v9, v9, v68
	v_mov_b32_e32 v56, v58
	v_add_f32_e32 v9, v9, v64
	v_add_f32_e32 v18, v18, v69
	v_fmac_f32_e32 v56, 0x3f737871, v21
	v_fmac_f32_e32 v58, 0xbf737871, v21
	v_add_f32_e32 v21, v70, v66
	v_add_f32_e32 v9, v9, v60
	;; [unrolled: 1-line block ×3, first 2 shown]
	v_sub_f32_e32 v57, v69, v61
	v_sub_f32_e32 v60, v71, v23
	v_fma_f32 v21, -0.5, v21, v59
	v_add_f32_e32 v18, v18, v23
	v_fmac_f32_e32 v56, 0xbf167918, v19
	v_add_f32_e32 v57, v57, v60
	v_fmac_f32_e32 v58, 0x3f167918, v19
	v_sub_f32_e32 v60, v61, v23
	v_mov_b32_e32 v23, v21
	v_fmac_f32_e32 v56, 0x3e9e377a, v57
	v_fmac_f32_e32 v58, 0x3e9e377a, v57
	;; [unrolled: 1-line block ×3, first 2 shown]
	v_sub_f32_e32 v61, v69, v71
	v_sub_f32_e32 v57, v65, v70
	;; [unrolled: 1-line block ×3, first 2 shown]
	v_fmac_f32_e32 v21, 0xbf737871, v60
	v_fmac_f32_e32 v23, 0x3f167918, v61
	v_add_f32_e32 v57, v57, v63
	v_fmac_f32_e32 v21, 0xbf167918, v61
	v_add_f32_e32 v19, v59, v65
	v_fmac_f32_e32 v23, 0x3e9e377a, v57
	v_fmac_f32_e32 v21, 0x3e9e377a, v57
	v_add_f32_e32 v57, v65, v62
	v_add_f32_e32 v19, v19, v70
	v_fmac_f32_e32 v59, -0.5, v57
	v_add_f32_e32 v19, v19, v66
	v_mov_b32_e32 v57, v59
	v_add_f32_e32 v19, v19, v62
	v_fmac_f32_e32 v57, 0xbf737871, v61
	v_sub_f32_e32 v63, v70, v65
	v_sub_f32_e32 v62, v66, v62
	v_fmac_f32_e32 v59, 0x3f737871, v61
	v_fmac_f32_e32 v57, 0x3f167918, v60
	v_add_f32_e32 v62, v63, v62
	v_fmac_f32_e32 v59, 0xbf167918, v60
	v_fmac_f32_e32 v57, 0x3e9e377a, v62
	v_fmac_f32_e32 v59, 0x3e9e377a, v62
	s_barrier
	ds_write2_b64 v110, v[8:9], v[12:13] offset1:13
	ds_write2_b64 v110, v[16:17], v[14:15] offset0:26 offset1:39
	ds_write_b64 v110, v[10:11] offset:416
	ds_write2_b64 v111, v[18:19], v[22:23] offset1:13
	ds_write2_b64 v111, v[56:57], v[58:59] offset0:26 offset1:39
	ds_write_b64 v111, v[20:21] offset:416
	s_and_saveexec_b64 s[0:1], vcc
	s_cbranch_execz .LBB0_9
; %bb.8:
	v_mul_f32_e32 v8, v7, v28
	v_mul_f32_e32 v10, v1, v30
	v_fma_f32 v9, v6, v29, -v8
	v_mul_f32_e32 v8, v5, v54
	v_fma_f32 v12, v0, v31, -v10
	;; [unrolled: 2-line block ×3, first 2 shown]
	v_fma_f32 v13, v2, v104, -v10
	v_mul_f32_e32 v14, v7, v29
	v_mul_f32_e32 v15, v1, v31
	v_add_f32_e32 v1, v11, v13
	v_mul_f32_e32 v16, v5, v55
	v_fmac_f32_e32 v14, v6, v28
	v_fmac_f32_e32 v15, v0, v30
	v_fma_f32 v1, -0.5, v1, v53
	v_fmac_f32_e32 v16, v4, v54
	v_mul_f32_e32 v4, v3, v104
	v_sub_f32_e32 v0, v14, v15
	v_mov_b32_e32 v6, v1
	v_fmac_f32_e32 v4, v2, v103
	v_sub_f32_e32 v3, v11, v9
	v_sub_f32_e32 v5, v13, v12
	;; [unrolled: 1-line block ×4, first 2 shown]
	v_fmac_f32_e32 v6, 0x3f737871, v0
	v_sub_f32_e32 v2, v16, v4
	v_fmac_f32_e32 v1, 0xbf737871, v0
	v_add_f32_e32 v5, v3, v5
	v_add_f32_e32 v3, v9, v12
	;; [unrolled: 1-line block ×3, first 2 shown]
	v_fmac_f32_e32 v6, 0xbf167918, v2
	v_fmac_f32_e32 v1, 0x3f167918, v2
	v_fma_f32 v3, -0.5, v3, v53
	v_fmac_f32_e32 v6, 0x3e9e377a, v8
	v_fmac_f32_e32 v1, 0x3e9e377a, v8
	v_mov_b32_e32 v8, v3
	v_fmac_f32_e32 v8, 0xbf737871, v2
	v_fmac_f32_e32 v3, 0x3f737871, v2
	;; [unrolled: 1-line block ×4, first 2 shown]
	v_add_f32_e32 v0, v53, v11
	v_add_f32_e32 v0, v0, v9
	;; [unrolled: 1-line block ×4, first 2 shown]
	v_sub_f32_e32 v0, v14, v16
	v_sub_f32_e32 v2, v15, v4
	v_add_f32_e32 v2, v0, v2
	v_add_f32_e32 v0, v16, v4
	v_fma_f32 v0, -0.5, v0, v52
	v_fmac_f32_e32 v8, 0x3e9e377a, v5
	v_fmac_f32_e32 v3, 0x3e9e377a, v5
	v_sub_f32_e32 v9, v9, v12
	v_mov_b32_e32 v5, v0
	v_sub_f32_e32 v11, v11, v13
	v_fmac_f32_e32 v5, 0xbf737871, v9
	v_fmac_f32_e32 v0, 0x3f737871, v9
	;; [unrolled: 1-line block ×6, first 2 shown]
	v_sub_f32_e32 v2, v16, v14
	v_sub_f32_e32 v7, v4, v15
	v_add_f32_e32 v12, v2, v7
	v_add_f32_e32 v2, v14, v15
	v_fma_f32 v2, -0.5, v2, v52
	v_mov_b32_e32 v7, v2
	v_fmac_f32_e32 v7, 0x3f737871, v11
	v_fmac_f32_e32 v2, 0xbf737871, v11
	v_fmac_f32_e32 v7, 0x3f167918, v9
	v_fmac_f32_e32 v2, 0xbf167918, v9
	v_add_f32_e32 v9, v52, v16
	v_add_f32_e32 v9, v9, v14
	;; [unrolled: 1-line block ×4, first 2 shown]
	v_mul_u32_u24_e32 v4, 0x41, v108
	v_add_u32_sdwa v4, v4, v109 dst_sel:DWORD dst_unused:UNUSED_PAD src0_sel:DWORD src1_sel:BYTE_0
	v_fmac_f32_e32 v2, 0x3e9e377a, v12
	v_lshl_add_u32 v4, v4, 3, v107
	v_fmac_f32_e32 v7, 0x3e9e377a, v12
	ds_write2_b64 v4, v[9:10], v[2:3] offset1:13
	ds_write2_b64 v4, v[0:1], v[5:6] offset0:26 offset1:39
	ds_write_b64 v4, v[7:8] offset:416
.LBB0_9:
	s_or_b64 exec, exec, s[0:1]
	s_waitcnt lgkmcnt(0)
	s_barrier
	ds_read2_b64 v[4:7], v106 offset1:65
	ds_read2_b64 v[8:11], v106 offset0:130 offset1:195
	v_add_u32_e32 v3, 0x800, v106
	ds_read2_b64 v[12:15], v3 offset0:4 offset1:69
	ds_read2_b64 v[16:19], v3 offset0:134 offset1:199
	v_add_u32_e32 v2, 0x1000, v106
	s_waitcnt lgkmcnt(3)
	v_mul_f32_e32 v54, v45, v7
	v_fmac_f32_e32 v54, v44, v6
	v_mul_f32_e32 v6, v45, v6
	v_fma_f32 v44, v44, v7, -v6
	s_waitcnt lgkmcnt(2)
	v_mul_f32_e32 v45, v47, v9
	v_mul_f32_e32 v6, v47, v8
	v_fmac_f32_e32 v45, v46, v8
	v_fma_f32 v8, v46, v9, -v6
	v_mul_f32_e32 v9, v37, v11
	v_mul_f32_e32 v6, v37, v10
	v_fmac_f32_e32 v9, v36, v10
	v_fma_f32 v10, v36, v11, -v6
	s_waitcnt lgkmcnt(1)
	v_mul_f32_e32 v11, v39, v13
	v_mul_f32_e32 v6, v39, v12
	ds_read2_b64 v[20:23], v2 offset0:8 offset1:73
	ds_read2_b64 v[28:31], v2 offset0:138 offset1:203
	ds_read_b64 v[52:53], v106 offset:6240
	v_fmac_f32_e32 v11, v38, v12
	v_fma_f32 v12, v38, v13, -v6
	v_mul_f32_e32 v13, v33, v15
	v_mul_f32_e32 v6, v33, v14
	v_fmac_f32_e32 v13, v32, v14
	v_fma_f32 v14, v32, v15, -v6
	s_waitcnt lgkmcnt(3)
	v_mul_f32_e32 v15, v35, v17
	v_mul_f32_e32 v6, v35, v16
	v_fmac_f32_e32 v15, v34, v16
	v_fma_f32 v16, v34, v17, -v6
	v_mul_f32_e32 v17, v25, v19
	v_mul_f32_e32 v6, v25, v18
	v_fmac_f32_e32 v17, v24, v18
	v_fma_f32 v18, v24, v19, -v6
	s_waitcnt lgkmcnt(2)
	v_mul_f32_e32 v19, v27, v21
	v_mul_f32_e32 v6, v27, v20
	v_fmac_f32_e32 v19, v26, v20
	v_fma_f32 v20, v26, v21, -v6
	v_mul_f32_e32 v21, v49, v23
	v_mul_f32_e32 v6, v49, v22
	v_add_f32_e32 v7, v5, v44
	v_fmac_f32_e32 v21, v48, v22
	v_fma_f32 v22, v48, v23, -v6
	s_waitcnt lgkmcnt(1)
	v_mul_f32_e32 v6, v51, v28
	v_add_f32_e32 v7, v7, v8
	v_fma_f32 v24, v50, v29, -v6
	v_mul_f32_e32 v6, v41, v30
	v_add_f32_e32 v7, v7, v10
	v_mul_f32_e32 v23, v51, v29
	v_fma_f32 v26, v40, v31, -v6
	s_waitcnt lgkmcnt(0)
	v_mul_f32_e32 v6, v43, v52
	v_add_f32_e32 v7, v7, v12
	v_fmac_f32_e32 v23, v50, v28
	v_fma_f32 v28, v42, v53, -v6
	v_add_f32_e32 v6, v4, v54
	v_add_f32_e32 v7, v7, v14
	;; [unrolled: 1-line block ×12, first 2 shown]
	v_mul_f32_e32 v25, v41, v31
	v_add_f32_e32 v6, v6, v17
	v_add_f32_e32 v7, v7, v26
	v_fmac_f32_e32 v25, v40, v30
	v_mul_f32_e32 v27, v43, v53
	v_add_f32_e32 v6, v6, v19
	v_add_f32_e32 v7, v7, v28
	v_add_f32_e32 v30, v44, v28
	v_sub_f32_e32 v28, v44, v28
	v_mad_u64_u32 v[0:1], s[0:1], s10, v76, 0
	v_fmac_f32_e32 v27, v42, v52
	v_add_f32_e32 v6, v6, v21
	v_mul_f32_e32 v31, 0xbeedf032, v28
	v_mul_f32_e32 v35, 0xbf52af12, v28
	;; [unrolled: 1-line block ×6, first 2 shown]
	v_add_f32_e32 v6, v6, v23
	v_add_f32_e32 v29, v54, v27
	s_mov_b32 s2, 0x3f62ad3f
	s_mov_b32 s1, 0x3f116cb1
	;; [unrolled: 1-line block ×6, first 2 shown]
	v_mov_b32_e32 v52, v28
	v_add_f32_e32 v6, v6, v25
	v_fma_f32 v32, v29, s2, -v31
	v_fmac_f32_e32 v31, 0x3f62ad3f, v29
	v_mul_f32_e32 v33, 0x3f62ad3f, v30
	v_fma_f32 v36, v29, s1, -v35
	v_fmac_f32_e32 v35, 0x3f116cb1, v29
	v_mul_f32_e32 v37, 0x3f116cb1, v30
	;; [unrolled: 3-line block ×5, first 2 shown]
	v_fmac_f32_e32 v52, 0xbf788fa5, v29
	v_mul_f32_e32 v30, 0xbf788fa5, v30
	v_fma_f32 v28, v29, s5, -v28
	v_add_f32_e32 v6, v6, v27
	v_sub_f32_e32 v27, v54, v27
	v_add_f32_e32 v31, v4, v31
	v_mov_b32_e32 v34, v33
	v_add_f32_e32 v32, v4, v32
	v_add_f32_e32 v35, v4, v35
	v_mov_b32_e32 v38, v37
	v_add_f32_e32 v36, v4, v36
	;; [unrolled: 3-line block ×6, first 2 shown]
	v_add_f32_e32 v28, v8, v26
	v_sub_f32_e32 v8, v8, v26
	v_fmac_f32_e32 v34, 0x3eedf032, v27
	v_fmac_f32_e32 v33, 0xbeedf032, v27
	v_fmac_f32_e32 v38, 0x3f52af12, v27
	v_fmac_f32_e32 v37, 0xbf52af12, v27
	v_fmac_f32_e32 v42, 0x3f7e222b, v27
	v_fmac_f32_e32 v41, 0xbf7e222b, v27
	v_fmac_f32_e32 v47, 0x3f6f5d39, v27
	v_fmac_f32_e32 v46, 0xbf6f5d39, v27
	v_fmac_f32_e32 v51, 0x3f29c268, v27
	v_fmac_f32_e32 v50, 0xbf29c268, v27
	v_fmac_f32_e32 v53, 0x3e750f2a, v27
	v_fmac_f32_e32 v30, 0xbe750f2a, v27
	v_add_f32_e32 v27, v45, v25
	v_mul_f32_e32 v26, 0xbf52af12, v8
	v_add_f32_e32 v34, v5, v34
	v_add_f32_e32 v33, v5, v33
	;; [unrolled: 1-line block ×12, first 2 shown]
	v_fma_f32 v29, v27, s1, -v26
	v_fmac_f32_e32 v26, 0x3f116cb1, v27
	v_mul_f32_e32 v30, 0x3f116cb1, v28
	v_sub_f32_e32 v25, v45, v25
	v_add_f32_e32 v26, v26, v31
	v_mov_b32_e32 v31, v30
	v_fmac_f32_e32 v31, 0x3f52af12, v25
	v_add_f32_e32 v29, v29, v32
	v_fmac_f32_e32 v30, 0xbf52af12, v25
	v_mul_f32_e32 v32, 0xbf6f5d39, v8
	v_add_f32_e32 v31, v31, v34
	v_add_f32_e32 v30, v30, v33
	v_fma_f32 v33, v27, s3, -v32
	v_fmac_f32_e32 v32, 0xbeb58ec6, v27
	v_mul_f32_e32 v34, 0xbeb58ec6, v28
	v_add_f32_e32 v32, v32, v35
	v_mov_b32_e32 v35, v34
	v_fmac_f32_e32 v35, 0x3f6f5d39, v25
	v_add_f32_e32 v33, v33, v36
	v_fmac_f32_e32 v34, 0xbf6f5d39, v25
	v_mul_f32_e32 v36, 0xbe750f2a, v8
	v_add_f32_e32 v35, v35, v38
	v_add_f32_e32 v34, v34, v37
	v_fma_f32 v37, v27, s5, -v36
	v_fmac_f32_e32 v36, 0xbf788fa5, v27
	v_mul_f32_e32 v38, 0xbf788fa5, v28
	;; [unrolled: 11-line block ×3, first 2 shown]
	v_add_f32_e32 v40, v40, v43
	v_mov_b32_e32 v43, v42
	v_add_f32_e32 v41, v41, v44
	v_fmac_f32_e32 v42, 0x3f29c268, v25
	v_mul_f32_e32 v44, 0x3f7e222b, v8
	v_fmac_f32_e32 v43, 0xbf29c268, v25
	v_add_f32_e32 v42, v42, v46
	v_fma_f32 v45, v27, s0, -v44
	v_mul_f32_e32 v46, 0x3df6dbef, v28
	v_mul_f32_e32 v28, 0x3f62ad3f, v28
	v_add_f32_e32 v43, v43, v47
	v_fmac_f32_e32 v44, 0x3df6dbef, v27
	v_mov_b32_e32 v47, v46
	v_add_f32_e32 v45, v45, v49
	v_mul_f32_e32 v8, 0x3eedf032, v8
	v_mov_b32_e32 v49, v28
	v_add_f32_e32 v44, v44, v48
	v_fmac_f32_e32 v47, 0xbf7e222b, v25
	v_fmac_f32_e32 v46, 0x3f7e222b, v25
	v_mov_b32_e32 v48, v8
	v_fmac_f32_e32 v49, 0xbeedf032, v25
	v_fma_f32 v8, v27, s2, -v8
	v_fmac_f32_e32 v28, 0x3eedf032, v25
	v_add_f32_e32 v25, v10, v24
	v_sub_f32_e32 v10, v10, v24
	v_add_f32_e32 v4, v8, v4
	v_add_f32_e32 v8, v9, v23
	v_sub_f32_e32 v9, v9, v23
	v_mul_f32_e32 v23, 0xbf7e222b, v10
	v_add_f32_e32 v5, v28, v5
	v_fma_f32 v24, v8, s0, -v23
	v_fmac_f32_e32 v23, 0x3df6dbef, v8
	v_mul_f32_e32 v28, 0xbe750f2a, v10
	v_add_f32_e32 v23, v23, v26
	v_mul_f32_e32 v26, 0x3df6dbef, v25
	v_add_f32_e32 v24, v24, v29
	v_fma_f32 v29, v8, s5, -v28
	v_fmac_f32_e32 v28, 0xbf788fa5, v8
	v_fmac_f32_e32 v48, 0x3f62ad3f, v27
	v_mov_b32_e32 v27, v26
	v_fmac_f32_e32 v26, 0xbf7e222b, v9
	v_add_f32_e32 v28, v28, v32
	v_mul_f32_e32 v32, 0x3f6f5d39, v10
	v_fmac_f32_e32 v27, 0x3f7e222b, v9
	v_add_f32_e32 v26, v26, v30
	v_mul_f32_e32 v30, 0xbf788fa5, v25
	v_add_f32_e32 v29, v29, v33
	v_fma_f32 v33, v8, s3, -v32
	v_fmac_f32_e32 v32, 0xbeb58ec6, v8
	v_add_f32_e32 v27, v27, v31
	v_mov_b32_e32 v31, v30
	v_fmac_f32_e32 v30, 0xbe750f2a, v9
	v_add_f32_e32 v32, v32, v36
	v_mul_f32_e32 v36, 0x3eedf032, v10
	v_fmac_f32_e32 v31, 0x3e750f2a, v9
	v_add_f32_e32 v30, v30, v34
	v_mul_f32_e32 v34, 0xbeb58ec6, v25
	v_add_f32_e32 v33, v33, v37
	v_fma_f32 v37, v8, s2, -v36
	v_fmac_f32_e32 v36, 0x3f62ad3f, v8
	v_add_f32_e32 v31, v31, v35
	v_mov_b32_e32 v35, v34
	v_fmac_f32_e32 v34, 0x3f6f5d39, v9
	v_add_f32_e32 v36, v36, v40
	v_mul_f32_e32 v40, 0xbf52af12, v10
	v_fmac_f32_e32 v35, 0xbf6f5d39, v9
	v_add_f32_e32 v34, v34, v38
	v_mul_f32_e32 v38, 0x3f62ad3f, v25
	v_add_f32_e32 v37, v37, v41
	v_fma_f32 v41, v8, s1, -v40
	v_fmac_f32_e32 v40, 0x3f116cb1, v8
	v_mul_f32_e32 v10, 0xbf29c268, v10
	v_add_f32_e32 v35, v35, v39
	v_mov_b32_e32 v39, v38
	v_fmac_f32_e32 v38, 0x3eedf032, v9
	v_add_f32_e32 v40, v40, v44
	v_mov_b32_e32 v44, v10
	v_fmac_f32_e32 v39, 0xbeedf032, v9
	v_add_f32_e32 v38, v38, v42
	v_mul_f32_e32 v42, 0x3f116cb1, v25
	v_fmac_f32_e32 v44, 0xbf3f9e67, v8
	v_mul_f32_e32 v25, 0xbf3f9e67, v25
	v_fma_f32 v8, v8, s4, -v10
	v_add_f32_e32 v39, v39, v43
	v_mov_b32_e32 v43, v42
	v_add_f32_e32 v41, v41, v45
	v_mov_b32_e32 v45, v25
	v_add_f32_e32 v4, v8, v4
	v_add_f32_e32 v8, v11, v21
	v_sub_f32_e32 v10, v11, v21
	v_sub_f32_e32 v11, v12, v22
	v_fmac_f32_e32 v43, 0x3f52af12, v9
	v_fmac_f32_e32 v42, 0xbf52af12, v9
	;; [unrolled: 1-line block ×4, first 2 shown]
	v_add_f32_e32 v9, v12, v22
	v_mul_f32_e32 v12, 0xbf6f5d39, v11
	v_fma_f32 v21, v8, s3, -v12
	v_fmac_f32_e32 v12, 0xbeb58ec6, v8
	v_mul_f32_e32 v22, 0xbeb58ec6, v9
	v_add_f32_e32 v21, v21, v24
	v_mul_f32_e32 v24, 0x3f29c268, v11
	v_add_f32_e32 v5, v25, v5
	v_add_f32_e32 v12, v12, v23
	v_mov_b32_e32 v23, v22
	v_fmac_f32_e32 v22, 0xbf6f5d39, v10
	v_fma_f32 v25, v8, s4, -v24
	v_fmac_f32_e32 v24, 0xbf3f9e67, v8
	v_fmac_f32_e32 v23, 0x3f6f5d39, v10
	v_add_f32_e32 v22, v22, v26
	v_add_f32_e32 v24, v24, v28
	v_mul_f32_e32 v26, 0xbf3f9e67, v9
	v_mul_f32_e32 v28, 0x3eedf032, v11
	v_add_f32_e32 v23, v23, v27
	v_mov_b32_e32 v27, v26
	v_add_f32_e32 v25, v25, v29
	v_fmac_f32_e32 v26, 0x3f29c268, v10
	v_fma_f32 v29, v8, s2, -v28
	v_fmac_f32_e32 v28, 0x3f62ad3f, v8
	v_fmac_f32_e32 v27, 0xbf29c268, v10
	v_add_f32_e32 v26, v26, v30
	v_add_f32_e32 v28, v28, v32
	v_mul_f32_e32 v30, 0x3f62ad3f, v9
	v_mul_f32_e32 v32, 0xbf7e222b, v11
	v_add_f32_e32 v27, v27, v31
	v_mov_b32_e32 v31, v30
	v_add_f32_e32 v29, v29, v33
	;; [unrolled: 11-line block ×3, first 2 shown]
	v_fmac_f32_e32 v34, 0xbf7e222b, v10
	v_fma_f32 v37, v8, s5, -v36
	v_fmac_f32_e32 v36, 0xbf788fa5, v8
	v_mul_f32_e32 v11, 0x3f52af12, v11
	v_fmac_f32_e32 v35, 0x3f7e222b, v10
	v_add_f32_e32 v34, v34, v38
	v_add_f32_e32 v36, v36, v40
	v_mul_f32_e32 v38, 0xbf788fa5, v9
	v_mov_b32_e32 v40, v11
	v_mul_f32_e32 v9, 0x3f116cb1, v9
	v_add_f32_e32 v35, v35, v39
	v_mov_b32_e32 v39, v38
	v_add_f32_e32 v37, v37, v41
	v_fmac_f32_e32 v40, 0x3f116cb1, v8
	v_mov_b32_e32 v41, v9
	v_fma_f32 v8, v8, s1, -v11
	v_sub_f32_e32 v11, v14, v20
	v_fmac_f32_e32 v39, 0xbe750f2a, v10
	v_fmac_f32_e32 v38, 0x3e750f2a, v10
	;; [unrolled: 1-line block ×3, first 2 shown]
	v_add_f32_e32 v4, v8, v4
	v_fmac_f32_e32 v9, 0x3f52af12, v10
	v_add_f32_e32 v8, v13, v19
	v_sub_f32_e32 v10, v13, v19
	v_mul_f32_e32 v13, 0xbf29c268, v11
	v_add_f32_e32 v5, v9, v5
	v_add_f32_e32 v9, v14, v20
	v_fma_f32 v14, v8, s4, -v13
	v_fmac_f32_e32 v13, 0xbf3f9e67, v8
	v_add_f32_e32 v12, v13, v12
	v_mul_f32_e32 v13, 0xbf3f9e67, v9
	v_mov_b32_e32 v19, v13
	v_fmac_f32_e32 v13, 0xbf29c268, v10
	v_mul_f32_e32 v20, 0x3f7e222b, v11
	v_fmac_f32_e32 v19, 0x3f29c268, v10
	v_add_f32_e32 v14, v14, v21
	v_add_f32_e32 v13, v13, v22
	v_fma_f32 v21, v8, s0, -v20
	v_fmac_f32_e32 v20, 0x3df6dbef, v8
	v_mul_f32_e32 v22, 0x3df6dbef, v9
	v_add_f32_e32 v19, v19, v23
	v_add_f32_e32 v20, v20, v24
	v_mov_b32_e32 v23, v22
	v_fmac_f32_e32 v22, 0x3f7e222b, v10
	v_mul_f32_e32 v24, 0xbf52af12, v11
	v_fmac_f32_e32 v23, 0xbf7e222b, v10
	v_add_f32_e32 v21, v21, v25
	v_add_f32_e32 v22, v22, v26
	v_fma_f32 v25, v8, s1, -v24
	v_fmac_f32_e32 v24, 0x3f116cb1, v8
	v_mul_f32_e32 v26, 0x3f116cb1, v9
	v_add_f32_e32 v23, v23, v27
	v_add_f32_e32 v24, v24, v28
	;; [unrolled: 11-line block ×3, first 2 shown]
	v_mov_b32_e32 v31, v30
	v_fmac_f32_e32 v30, 0x3e750f2a, v10
	v_mul_f32_e32 v32, 0x3eedf032, v11
	v_add_f32_e32 v49, v49, v53
	v_add_f32_e32 v29, v29, v33
	;; [unrolled: 1-line block ×3, first 2 shown]
	v_fma_f32 v33, v8, s2, -v32
	v_mul_f32_e32 v34, 0x3f62ad3f, v9
	v_mul_f32_e32 v9, 0xbeb58ec6, v9
	v_add_f32_e32 v47, v47, v51
	v_add_f32_e32 v46, v46, v50
	;; [unrolled: 1-line block ×4, first 2 shown]
	v_fmac_f32_e32 v31, 0xbe750f2a, v10
	v_fmac_f32_e32 v32, 0x3f62ad3f, v8
	v_add_f32_e32 v33, v33, v37
	v_mul_f32_e32 v11, 0xbf6f5d39, v11
	v_mov_b32_e32 v37, v9
	v_add_f32_e32 v43, v43, v47
	v_add_f32_e32 v42, v42, v46
	;; [unrolled: 1-line block ×6, first 2 shown]
	v_mov_b32_e32 v35, v34
	v_mov_b32_e32 v36, v11
	v_fmac_f32_e32 v37, 0x3f6f5d39, v10
	v_add_f32_e32 v39, v39, v43
	v_add_f32_e32 v38, v38, v42
	;; [unrolled: 1-line block ×3, first 2 shown]
	v_fmac_f32_e32 v35, 0xbeedf032, v10
	v_fmac_f32_e32 v34, 0x3eedf032, v10
	;; [unrolled: 1-line block ×3, first 2 shown]
	v_add_f32_e32 v37, v37, v41
	v_fma_f32 v8, v8, s3, -v11
	v_fmac_f32_e32 v9, 0xbf6f5d39, v10
	v_add_f32_e32 v41, v16, v18
	v_sub_f32_e32 v43, v16, v18
	v_add_f32_e32 v35, v35, v39
	v_add_f32_e32 v34, v34, v38
	;; [unrolled: 1-line block ×6, first 2 shown]
	v_sub_f32_e32 v42, v15, v17
	v_mul_f32_e32 v4, 0xbe750f2a, v43
	v_mul_f32_e32 v9, 0xbf788fa5, v41
	v_fma_f32 v8, v40, s5, -v4
	v_fmac_f32_e32 v4, 0xbf788fa5, v40
	v_mov_b32_e32 v5, v9
	v_fmac_f32_e32 v9, 0xbe750f2a, v42
	v_mul_f32_e32 v10, 0x3eedf032, v43
	v_add_f32_e32 v4, v4, v12
	v_add_f32_e32 v8, v8, v14
	;; [unrolled: 1-line block ×3, first 2 shown]
	v_fma_f32 v12, v40, s2, -v10
	v_fmac_f32_e32 v10, 0x3f62ad3f, v40
	v_mul_f32_e32 v13, 0x3f62ad3f, v41
	v_mul_f32_e32 v14, 0xbf29c268, v43
	;; [unrolled: 1-line block ×4, first 2 shown]
	v_add_f32_e32 v10, v10, v20
	v_mov_b32_e32 v11, v13
	v_fma_f32 v16, v40, s4, -v14
	v_mov_b32_e32 v15, v17
	v_fma_f32 v20, v40, s1, -v18
	v_fmac_f32_e32 v18, 0x3f116cb1, v40
	v_fmac_f32_e32 v5, 0x3e750f2a, v42
	;; [unrolled: 1-line block ×3, first 2 shown]
	v_add_f32_e32 v12, v12, v21
	v_fmac_f32_e32 v13, 0x3eedf032, v42
	v_fmac_f32_e32 v15, 0x3f29c268, v42
	v_add_f32_e32 v16, v16, v25
	v_fmac_f32_e32 v17, 0xbf29c268, v42
	v_add_f32_e32 v18, v18, v28
	v_mul_f32_e32 v21, 0x3f116cb1, v41
	v_add_f32_e32 v20, v20, v29
	v_mul_f32_e32 v25, 0xbeb58ec6, v41
	v_mul_f32_e32 v28, 0x3f7e222b, v43
	;; [unrolled: 1-line block ×3, first 2 shown]
	v_add_f32_e32 v5, v5, v19
	v_add_f32_e32 v11, v11, v23
	;; [unrolled: 1-line block ×3, first 2 shown]
	v_fmac_f32_e32 v14, 0xbf3f9e67, v40
	v_add_f32_e32 v15, v15, v27
	v_add_f32_e32 v17, v17, v26
	v_mov_b32_e32 v19, v21
	v_mul_f32_e32 v22, 0xbf6f5d39, v43
	v_mov_b32_e32 v23, v25
	v_mov_b32_e32 v26, v28
	;; [unrolled: 1-line block ×3, first 2 shown]
	v_add_f32_e32 v14, v14, v24
	v_fmac_f32_e32 v19, 0xbf52af12, v42
	v_fmac_f32_e32 v21, 0x3f52af12, v42
	v_fma_f32 v24, v40, s3, -v22
	v_fmac_f32_e32 v22, 0xbeb58ec6, v40
	v_fmac_f32_e32 v23, 0x3f6f5d39, v42
	;; [unrolled: 1-line block ×5, first 2 shown]
	v_fma_f32 v28, v40, s0, -v28
	v_fmac_f32_e32 v29, 0x3f7e222b, v42
	v_add_f32_e32 v19, v19, v31
	v_add_f32_e32 v21, v21, v30
	;; [unrolled: 1-line block ×10, first 2 shown]
	ds_write2_b64 v106, v[6:7], v[4:5] offset1:65
	ds_write2_b64 v106, v[10:11], v[14:15] offset0:130 offset1:195
	ds_write2_b64 v3, v[18:19], v[22:23] offset0:4 offset1:69
	;; [unrolled: 1-line block ×5, first 2 shown]
	ds_write_b64 v106, v[8:9] offset:6240
	s_waitcnt lgkmcnt(0)
	s_barrier
	ds_read2_b64 v[4:7], v106 offset1:65
	s_mov_b32 s0, 0x622898b1
	s_mov_b32 s1, 0x3f5363ac
	v_mad_u64_u32 v[10:11], s[2:3], s8, v105, 0
	s_waitcnt lgkmcnt(0)
	v_mul_f32_e32 v8, v102, v5
	v_fmac_f32_e32 v8, v101, v4
	v_mul_f32_e32 v4, v102, v4
	v_fma_f32 v4, v101, v5, -v4
	v_cvt_f64_f32_e32 v[8:9], v8
	v_cvt_f64_f32_e32 v[4:5], v4
	v_mad_u64_u32 v[12:13], s[2:3], s11, v76, v[1:2]
	v_mul_f64 v[8:9], v[8:9], s[0:1]
	v_mul_f64 v[4:5], v[4:5], s[0:1]
	v_mov_b32_e32 v1, v11
	v_mad_u64_u32 v[13:14], s[2:3], s9, v105, v[1:2]
	v_mov_b32_e32 v1, v12
	v_lshlrev_b64 v[0:1], 3, v[0:1]
	v_mov_b32_e32 v11, v13
	v_cvt_f32_f64_e32 v8, v[8:9]
	v_cvt_f32_f64_e32 v9, v[4:5]
	v_mul_f32_e32 v4, v98, v7
	v_fmac_f32_e32 v4, v97, v6
	v_cvt_f64_f32_e32 v[4:5], v4
	v_mul_f32_e32 v6, v98, v6
	v_fma_f32 v6, v97, v7, -v6
	v_mov_b32_e32 v12, s7
	v_cvt_f64_f32_e32 v[6:7], v6
	v_add_co_u32_e32 v14, vcc, s6, v0
	v_addc_co_u32_e32 v15, vcc, v12, v1, vcc
	v_lshlrev_b64 v[0:1], 3, v[10:11]
	v_mul_f64 v[10:11], v[4:5], s[0:1]
	v_mul_f64 v[12:13], v[6:7], s[0:1]
	ds_read2_b64 v[4:7], v106 offset0:130 offset1:195
	v_add_co_u32_e32 v0, vcc, v14, v0
	v_addc_co_u32_e32 v1, vcc, v15, v1, vcc
	global_store_dwordx2 v[0:1], v[8:9], off
	v_cvt_f32_f64_e32 v8, v[10:11]
	s_waitcnt lgkmcnt(0)
	v_mul_f32_e32 v10, v90, v5
	v_fmac_f32_e32 v10, v89, v4
	v_mul_f32_e32 v4, v90, v4
	v_fma_f32 v4, v89, v5, -v4
	v_cvt_f64_f32_e32 v[4:5], v4
	v_cvt_f64_f32_e32 v[10:11], v10
	v_cvt_f32_f64_e32 v9, v[12:13]
	s_mul_i32 s2, s9, 0x208
	v_mul_f64 v[4:5], v[4:5], s[0:1]
	v_mul_f64 v[10:11], v[10:11], s[0:1]
	s_mul_hi_u32 s3, s8, 0x208
	s_add_i32 s2, s3, s2
	s_mul_i32 s3, s8, 0x208
	v_mov_b32_e32 v12, s2
	v_add_co_u32_e32 v0, vcc, s3, v0
	v_addc_co_u32_e32 v1, vcc, v1, v12, vcc
	global_store_dwordx2 v[0:1], v[8:9], off
	v_cvt_f32_f64_e32 v9, v[4:5]
	v_mul_f32_e32 v4, v84, v7
	v_fmac_f32_e32 v4, v83, v6
	v_cvt_f32_f64_e32 v8, v[10:11]
	v_cvt_f64_f32_e32 v[10:11], v4
	v_mul_f32_e32 v4, v84, v6
	v_fma_f32 v4, v83, v7, -v4
	v_cvt_f64_f32_e32 v[12:13], v4
	ds_read2_b64 v[4:7], v3 offset0:4 offset1:69
	v_mov_b32_e32 v14, s2
	v_add_co_u32_e32 v0, vcc, s3, v0
	v_addc_co_u32_e32 v1, vcc, v1, v14, vcc
	global_store_dwordx2 v[0:1], v[8:9], off
	v_mul_f64 v[8:9], v[10:11], s[0:1]
	v_mul_f64 v[10:11], v[12:13], s[0:1]
	s_waitcnt lgkmcnt(0)
	v_mul_f32_e32 v12, v100, v5
	v_fmac_f32_e32 v12, v99, v4
	v_mul_f32_e32 v4, v100, v4
	v_fma_f32 v4, v99, v5, -v4
	v_cvt_f64_f32_e32 v[4:5], v4
	v_cvt_f64_f32_e32 v[12:13], v12
	v_cvt_f32_f64_e32 v8, v[8:9]
	v_cvt_f32_f64_e32 v9, v[10:11]
	v_mul_f64 v[4:5], v[4:5], s[0:1]
	v_mul_f64 v[10:11], v[12:13], s[0:1]
	v_mov_b32_e32 v12, s2
	v_add_co_u32_e32 v0, vcc, s3, v0
	v_addc_co_u32_e32 v1, vcc, v1, v12, vcc
	global_store_dwordx2 v[0:1], v[8:9], off
	v_cvt_f32_f64_e32 v9, v[4:5]
	v_mul_f32_e32 v4, v96, v7
	v_fmac_f32_e32 v4, v95, v6
	v_cvt_f32_f64_e32 v8, v[10:11]
	v_cvt_f64_f32_e32 v[10:11], v4
	v_mul_f32_e32 v4, v96, v6
	v_fma_f32 v4, v95, v7, -v4
	v_cvt_f64_f32_e32 v[12:13], v4
	ds_read2_b64 v[3:6], v3 offset0:134 offset1:199
	v_add_co_u32_e32 v0, vcc, s3, v0
	v_addc_co_u32_e32 v1, vcc, v1, v14, vcc
	global_store_dwordx2 v[0:1], v[8:9], off
	v_mul_f64 v[7:8], v[10:11], s[0:1]
	s_waitcnt lgkmcnt(0)
	v_mul_f32_e32 v11, v92, v4
	v_mul_f64 v[9:10], v[12:13], s[0:1]
	v_fmac_f32_e32 v11, v91, v3
	v_mul_f32_e32 v3, v92, v3
	v_fma_f32 v3, v91, v4, -v3
	v_cvt_f64_f32_e32 v[3:4], v3
	v_cvt_f64_f32_e32 v[11:12], v11
	v_cvt_f32_f64_e32 v7, v[7:8]
	v_add_co_u32_e32 v0, vcc, s3, v0
	v_mul_f64 v[3:4], v[3:4], s[0:1]
	v_cvt_f32_f64_e32 v8, v[9:10]
	v_mul_f64 v[9:10], v[11:12], s[0:1]
	v_mov_b32_e32 v11, s2
	v_addc_co_u32_e32 v1, vcc, v1, v11, vcc
	global_store_dwordx2 v[0:1], v[7:8], off
	v_mov_b32_e32 v13, s2
	v_cvt_f32_f64_e32 v8, v[3:4]
	v_mul_f32_e32 v3, v86, v6
	v_fmac_f32_e32 v3, v85, v5
	v_cvt_f32_f64_e32 v7, v[9:10]
	v_cvt_f64_f32_e32 v[9:10], v3
	v_mul_f32_e32 v3, v86, v5
	v_fma_f32 v3, v85, v6, -v3
	v_cvt_f64_f32_e32 v[11:12], v3
	ds_read2_b64 v[3:6], v2 offset0:8 offset1:73
	v_add_co_u32_e32 v0, vcc, s3, v0
	v_addc_co_u32_e32 v1, vcc, v1, v13, vcc
	global_store_dwordx2 v[0:1], v[7:8], off
	v_mul_f64 v[7:8], v[9:10], s[0:1]
	v_mul_f64 v[9:10], v[11:12], s[0:1]
	s_waitcnt lgkmcnt(0)
	v_mul_f32_e32 v11, v94, v4
	v_fmac_f32_e32 v11, v93, v3
	v_cvt_f64_f32_e32 v[11:12], v11
	v_mul_f32_e32 v3, v94, v3
	v_fma_f32 v3, v93, v4, -v3
	v_cvt_f64_f32_e32 v[3:4], v3
	v_cvt_f32_f64_e32 v7, v[7:8]
	v_cvt_f32_f64_e32 v8, v[9:10]
	v_mul_f64 v[9:10], v[11:12], s[0:1]
	v_mul_f64 v[3:4], v[3:4], s[0:1]
	v_mov_b32_e32 v12, s2
	v_add_co_u32_e32 v11, vcc, s3, v0
	v_mul_f32_e32 v0, v82, v6
	v_addc_co_u32_e32 v12, vcc, v1, v12, vcc
	v_fmac_f32_e32 v0, v81, v5
	global_store_dwordx2 v[11:12], v[7:8], off
	v_cvt_f32_f64_e32 v7, v[9:10]
	v_cvt_f64_f32_e32 v[9:10], v0
	v_mul_f32_e32 v0, v82, v5
	v_fma_f32 v0, v81, v6, -v0
	v_cvt_f32_f64_e32 v8, v[3:4]
	v_cvt_f64_f32_e32 v[4:5], v0
	ds_read2_b64 v[0:3], v2 offset0:138 offset1:203
	v_add_co_u32_e32 v11, vcc, s3, v11
	v_addc_co_u32_e32 v12, vcc, v12, v13, vcc
	global_store_dwordx2 v[11:12], v[7:8], off
	v_mul_f64 v[6:7], v[9:10], s[0:1]
	v_mul_f64 v[4:5], v[4:5], s[0:1]
	s_waitcnt lgkmcnt(0)
	v_mul_f32_e32 v8, v88, v1
	v_fmac_f32_e32 v8, v87, v0
	v_mul_f32_e32 v0, v88, v0
	v_fma_f32 v0, v87, v1, -v0
	v_cvt_f64_f32_e32 v[8:9], v8
	v_cvt_f64_f32_e32 v[0:1], v0
	v_cvt_f32_f64_e32 v6, v[6:7]
	v_cvt_f32_f64_e32 v7, v[4:5]
	v_mul_f64 v[4:5], v[8:9], s[0:1]
	v_mul_f64 v[0:1], v[0:1], s[0:1]
	v_mov_b32_e32 v9, s2
	v_add_co_u32_e32 v8, vcc, s3, v11
	v_addc_co_u32_e32 v9, vcc, v12, v9, vcc
	global_store_dwordx2 v[8:9], v[6:7], off
	v_cvt_f32_f64_e32 v4, v[4:5]
	v_cvt_f32_f64_e32 v5, v[0:1]
	v_mul_f32_e32 v0, v80, v3
	v_fmac_f32_e32 v0, v79, v2
	v_mul_f32_e32 v2, v80, v2
	v_fma_f32 v2, v79, v3, -v2
	v_cvt_f64_f32_e32 v[0:1], v0
	v_cvt_f64_f32_e32 v[2:3], v2
	ds_read_b64 v[6:7], v106 offset:6240
	v_mov_b32_e32 v10, s2
	v_add_co_u32_e32 v8, vcc, s3, v8
	v_addc_co_u32_e32 v9, vcc, v9, v10, vcc
	v_mul_f64 v[0:1], v[0:1], s[0:1]
	v_mul_f64 v[2:3], v[2:3], s[0:1]
	global_store_dwordx2 v[8:9], v[4:5], off
	s_waitcnt lgkmcnt(0)
	v_mul_f32_e32 v4, v78, v7
	v_fmac_f32_e32 v4, v77, v6
	v_mul_f32_e32 v6, v78, v6
	v_fma_f32 v6, v77, v7, -v6
	v_cvt_f64_f32_e32 v[4:5], v4
	v_cvt_f64_f32_e32 v[6:7], v6
	v_cvt_f32_f64_e32 v0, v[0:1]
	v_cvt_f32_f64_e32 v1, v[2:3]
	v_mul_f64 v[2:3], v[4:5], s[0:1]
	v_mul_f64 v[4:5], v[6:7], s[0:1]
	v_mov_b32_e32 v7, s2
	v_add_co_u32_e32 v6, vcc, s3, v8
	v_addc_co_u32_e32 v7, vcc, v9, v7, vcc
	global_store_dwordx2 v[6:7], v[0:1], off
	v_cvt_f32_f64_e32 v0, v[2:3]
	v_cvt_f32_f64_e32 v1, v[4:5]
	v_mov_b32_e32 v3, s2
	v_add_co_u32_e32 v2, vcc, s3, v6
	v_addc_co_u32_e32 v3, vcc, v7, v3, vcc
	global_store_dwordx2 v[2:3], v[0:1], off
.LBB0_10:
	s_endpgm
	.section	.rodata,"a",@progbits
	.p2align	6, 0x0
	.amdhsa_kernel bluestein_single_fwd_len845_dim1_sp_op_CI_CI
		.amdhsa_group_segment_fixed_size 20280
		.amdhsa_private_segment_fixed_size 0
		.amdhsa_kernarg_size 104
		.amdhsa_user_sgpr_count 6
		.amdhsa_user_sgpr_private_segment_buffer 1
		.amdhsa_user_sgpr_dispatch_ptr 0
		.amdhsa_user_sgpr_queue_ptr 0
		.amdhsa_user_sgpr_kernarg_segment_ptr 1
		.amdhsa_user_sgpr_dispatch_id 0
		.amdhsa_user_sgpr_flat_scratch_init 0
		.amdhsa_user_sgpr_private_segment_size 0
		.amdhsa_uses_dynamic_stack 0
		.amdhsa_system_sgpr_private_segment_wavefront_offset 0
		.amdhsa_system_sgpr_workgroup_id_x 1
		.amdhsa_system_sgpr_workgroup_id_y 0
		.amdhsa_system_sgpr_workgroup_id_z 0
		.amdhsa_system_sgpr_workgroup_info 0
		.amdhsa_system_vgpr_workitem_id 0
		.amdhsa_next_free_vgpr 141
		.amdhsa_next_free_sgpr 20
		.amdhsa_reserve_vcc 1
		.amdhsa_reserve_flat_scratch 0
		.amdhsa_float_round_mode_32 0
		.amdhsa_float_round_mode_16_64 0
		.amdhsa_float_denorm_mode_32 3
		.amdhsa_float_denorm_mode_16_64 3
		.amdhsa_dx10_clamp 1
		.amdhsa_ieee_mode 1
		.amdhsa_fp16_overflow 0
		.amdhsa_exception_fp_ieee_invalid_op 0
		.amdhsa_exception_fp_denorm_src 0
		.amdhsa_exception_fp_ieee_div_zero 0
		.amdhsa_exception_fp_ieee_overflow 0
		.amdhsa_exception_fp_ieee_underflow 0
		.amdhsa_exception_fp_ieee_inexact 0
		.amdhsa_exception_int_div_zero 0
	.end_amdhsa_kernel
	.text
.Lfunc_end0:
	.size	bluestein_single_fwd_len845_dim1_sp_op_CI_CI, .Lfunc_end0-bluestein_single_fwd_len845_dim1_sp_op_CI_CI
                                        ; -- End function
	.section	.AMDGPU.csdata,"",@progbits
; Kernel info:
; codeLenInByte = 18116
; NumSgprs: 24
; NumVgprs: 141
; ScratchSize: 0
; MemoryBound: 0
; FloatMode: 240
; IeeeMode: 1
; LDSByteSize: 20280 bytes/workgroup (compile time only)
; SGPRBlocks: 2
; VGPRBlocks: 35
; NumSGPRsForWavesPerEU: 24
; NumVGPRsForWavesPerEU: 141
; Occupancy: 1
; WaveLimiterHint : 1
; COMPUTE_PGM_RSRC2:SCRATCH_EN: 0
; COMPUTE_PGM_RSRC2:USER_SGPR: 6
; COMPUTE_PGM_RSRC2:TRAP_HANDLER: 0
; COMPUTE_PGM_RSRC2:TGID_X_EN: 1
; COMPUTE_PGM_RSRC2:TGID_Y_EN: 0
; COMPUTE_PGM_RSRC2:TGID_Z_EN: 0
; COMPUTE_PGM_RSRC2:TIDIG_COMP_CNT: 0
	.type	__hip_cuid_2be906904e797530,@object ; @__hip_cuid_2be906904e797530
	.section	.bss,"aw",@nobits
	.globl	__hip_cuid_2be906904e797530
__hip_cuid_2be906904e797530:
	.byte	0                               ; 0x0
	.size	__hip_cuid_2be906904e797530, 1

	.ident	"AMD clang version 19.0.0git (https://github.com/RadeonOpenCompute/llvm-project roc-6.4.0 25133 c7fe45cf4b819c5991fe208aaa96edf142730f1d)"
	.section	".note.GNU-stack","",@progbits
	.addrsig
	.addrsig_sym __hip_cuid_2be906904e797530
	.amdgpu_metadata
---
amdhsa.kernels:
  - .args:
      - .actual_access:  read_only
        .address_space:  global
        .offset:         0
        .size:           8
        .value_kind:     global_buffer
      - .actual_access:  read_only
        .address_space:  global
        .offset:         8
        .size:           8
        .value_kind:     global_buffer
      - .actual_access:  read_only
        .address_space:  global
        .offset:         16
        .size:           8
        .value_kind:     global_buffer
      - .actual_access:  read_only
        .address_space:  global
        .offset:         24
        .size:           8
        .value_kind:     global_buffer
      - .actual_access:  read_only
        .address_space:  global
        .offset:         32
        .size:           8
        .value_kind:     global_buffer
      - .offset:         40
        .size:           8
        .value_kind:     by_value
      - .address_space:  global
        .offset:         48
        .size:           8
        .value_kind:     global_buffer
      - .address_space:  global
        .offset:         56
        .size:           8
        .value_kind:     global_buffer
      - .address_space:  global
        .offset:         64
        .size:           8
        .value_kind:     global_buffer
      - .address_space:  global
        .offset:         72
        .size:           8
        .value_kind:     global_buffer
      - .offset:         80
        .size:           4
        .value_kind:     by_value
      - .address_space:  global
        .offset:         88
        .size:           8
        .value_kind:     global_buffer
      - .address_space:  global
        .offset:         96
        .size:           8
        .value_kind:     global_buffer
    .group_segment_fixed_size: 20280
    .kernarg_segment_align: 8
    .kernarg_segment_size: 104
    .language:       OpenCL C
    .language_version:
      - 2
      - 0
    .max_flat_workgroup_size: 195
    .name:           bluestein_single_fwd_len845_dim1_sp_op_CI_CI
    .private_segment_fixed_size: 0
    .sgpr_count:     24
    .sgpr_spill_count: 0
    .symbol:         bluestein_single_fwd_len845_dim1_sp_op_CI_CI.kd
    .uniform_work_group_size: 1
    .uses_dynamic_stack: false
    .vgpr_count:     141
    .vgpr_spill_count: 0
    .wavefront_size: 64
amdhsa.target:   amdgcn-amd-amdhsa--gfx906
amdhsa.version:
  - 1
  - 2
...

	.end_amdgpu_metadata
